;; amdgpu-corpus repo=zjin-lcf/HeCBench kind=compiled arch=gfx1250 opt=O3
	.amdgcn_target "amdgcn-amd-amdhsa--gfx1250"
	.amdhsa_code_object_version 6
	.text
	.protected	_Z9printAIGAPKiS0_S0_iii ; -- Begin function _Z9printAIGAPKiS0_S0_iii
	.globl	_Z9printAIGAPKiS0_S0_iii
	.p2align	8
	.type	_Z9printAIGAPKiS0_S0_iii,@function
_Z9printAIGAPKiS0_S0_iii:               ; @_Z9printAIGAPKiS0_S0_iii
; %bb.0:
	s_load_b32 s2, s[0:1], 0x34
	s_bfe_u32 s3, ttmp6, 0x4000c
	s_and_b32 s4, ttmp6, 15
	s_add_co_i32 s3, s3, 1
	s_getreg_b32 s5, hwreg(HW_REG_IB_STS2, 6, 4)
	s_mul_i32 s3, ttmp9, s3
	v_sub_nc_u32_e32 v0, 0, v0
	s_add_co_i32 s4, s4, s3
	s_wait_kmcnt 0x0
	s_and_b32 s2, s2, 0xffff
	s_cmp_eq_u32 s5, 0
	s_cselect_b32 s3, ttmp9, s4
	s_delay_alu instid0(SALU_CYCLE_1)
	s_mul_i32 s3, s3, s2
	s_mov_b32 s2, exec_lo
	v_cmpx_eq_u32_e64 s3, v0
	s_cbranch_execz .LBB0_1109
; %bb.1:
	s_add_nc_u64 s[2:3], s[0:1], 40
	v_mbcnt_lo_u32_b32 v46, -1, 0
	s_load_b64 s[16:17], s[2:3], 0x50
	v_mov_b64_e32 v[2:3], 0
	s_wait_xcnt 0x0
	s_delay_alu instid0(VALU_DEP_2) | instskip(NEXT) | instid1(VALU_DEP_1)
	v_readfirstlane_b32 s2, v46
	v_cmp_eq_u32_e64 s2, s2, v46
	s_and_saveexec_b32 s3, s2
	s_cbranch_execz .LBB0_7
; %bb.2:
	v_mov_b32_e32 v0, 0
	s_mov_b32 s4, exec_lo
	s_wait_kmcnt 0x0
	global_load_b64 v[4:5], v0, s[16:17] offset:24 scope:SCOPE_SYS
	s_wait_loadcnt 0x0
	global_inv scope:SCOPE_SYS
	s_clause 0x1
	global_load_b64 v[2:3], v0, s[16:17] offset:40
	global_load_b64 v[6:7], v0, s[16:17]
	s_wait_loadcnt 0x1
	v_and_b32_e32 v2, v2, v4
	v_and_b32_e32 v3, v3, v5
	s_delay_alu instid0(VALU_DEP_1) | instskip(SKIP_1) | instid1(VALU_DEP_1)
	v_mul_u64_e32 v[2:3], 24, v[2:3]
	s_wait_loadcnt 0x0
	v_add_nc_u64_e32 v[2:3], v[6:7], v[2:3]
	global_load_b64 v[2:3], v[2:3], off scope:SCOPE_SYS
	s_wait_xcnt 0x0
	s_wait_loadcnt 0x0
	global_atomic_cmpswap_b64 v[2:3], v0, v[2:5], s[16:17] offset:24 th:TH_ATOMIC_RETURN scope:SCOPE_SYS
	s_wait_loadcnt 0x0
	global_inv scope:SCOPE_SYS
	s_wait_xcnt 0x0
	v_cmpx_ne_u64_e64 v[2:3], v[4:5]
	s_cbranch_execz .LBB0_6
; %bb.3:
	s_mov_b32 s5, 0
.LBB0_4:                                ; =>This Inner Loop Header: Depth=1
	s_sleep 1
	s_clause 0x1
	global_load_b64 v[6:7], v0, s[16:17] offset:40
	global_load_b64 v[8:9], v0, s[16:17]
	v_mov_b64_e32 v[4:5], v[2:3]
	s_wait_loadcnt 0x1
	s_delay_alu instid0(VALU_DEP_1) | instskip(SKIP_1) | instid1(VALU_DEP_1)
	v_and_b32_e32 v1, v6, v4
	s_wait_loadcnt 0x0
	v_mad_nc_u64_u32 v[2:3], v1, 24, v[8:9]
	s_delay_alu instid0(VALU_DEP_3) | instskip(NEXT) | instid1(VALU_DEP_1)
	v_and_b32_e32 v1, v7, v5
	v_mad_u32 v3, v1, 24, v3
	global_load_b64 v[2:3], v[2:3], off scope:SCOPE_SYS
	s_wait_xcnt 0x0
	s_wait_loadcnt 0x0
	global_atomic_cmpswap_b64 v[2:3], v0, v[2:5], s[16:17] offset:24 th:TH_ATOMIC_RETURN scope:SCOPE_SYS
	s_wait_loadcnt 0x0
	global_inv scope:SCOPE_SYS
	v_cmp_eq_u64_e32 vcc_lo, v[2:3], v[4:5]
	s_or_b32 s5, vcc_lo, s5
	s_wait_xcnt 0x0
	s_and_not1_b32 exec_lo, exec_lo, s5
	s_cbranch_execnz .LBB0_4
; %bb.5:
	s_or_b32 exec_lo, exec_lo, s5
.LBB0_6:
	s_delay_alu instid0(SALU_CYCLE_1)
	s_or_b32 exec_lo, exec_lo, s4
.LBB0_7:
	s_delay_alu instid0(SALU_CYCLE_1)
	s_or_b32 exec_lo, exec_lo, s3
	v_readfirstlane_b32 s4, v2
	v_mov_b32_e32 v1, 0
	v_readfirstlane_b32 s5, v3
	s_mov_b32 s3, exec_lo
	s_wait_kmcnt 0x0
	s_clause 0x1
	global_load_b64 v[8:9], v1, s[16:17] offset:40
	global_load_b128 v[4:7], v1, s[16:17]
	s_wait_loadcnt 0x1
	v_and_b32_e32 v10, s4, v8
	v_and_b32_e32 v11, s5, v9
	s_delay_alu instid0(VALU_DEP_1) | instskip(SKIP_1) | instid1(VALU_DEP_1)
	v_mul_u64_e32 v[2:3], 24, v[10:11]
	s_wait_loadcnt 0x0
	v_add_nc_u64_e32 v[8:9], v[4:5], v[2:3]
	s_and_saveexec_b32 s6, s2
	s_cbranch_execz .LBB0_9
; %bb.8:
	v_mov_b64_e32 v[2:3], 0x100000002
	v_mov_b32_e32 v0, s3
	global_store_b128 v[8:9], v[0:3], off offset:8
.LBB0_9:
	s_wait_xcnt 0x0
	s_or_b32 exec_lo, exec_lo, s6
	v_lshlrev_b64_e32 v[2:3], 12, v[10:11]
	s_mov_b32 s8, 0
	v_dual_lshlrev_b32 v0, 6, v46 :: v_dual_mov_b32 v10, 33
	s_mov_b32 s10, s8
	s_mov_b32 s11, s8
	;; [unrolled: 1-line block ×3, first 2 shown]
	s_delay_alu instid0(VALU_DEP_2)
	v_add_nc_u64_e32 v[6:7], v[6:7], v[2:3]
	v_mov_b64_e32 v[16:17], s[10:11]
	v_mov_b64_e32 v[14:15], s[8:9]
	v_dual_mov_b32 v11, v1 :: v_dual_mov_b32 v12, v1
	v_mov_b32_e32 v13, v1
	v_readfirstlane_b32 s6, v6
	v_readfirstlane_b32 s7, v7
	s_clause 0x3
	global_store_b128 v0, v[10:13], s[6:7]
	global_store_b128 v0, v[14:17], s[6:7] offset:16
	global_store_b128 v0, v[14:17], s[6:7] offset:32
	;; [unrolled: 1-line block ×3, first 2 shown]
	s_wait_xcnt 0x0
	s_and_saveexec_b32 s3, s2
	s_cbranch_execz .LBB0_17
; %bb.10:
	v_dual_mov_b32 v12, 0 :: v_dual_mov_b32 v15, s5
	s_mov_b32 s6, exec_lo
	s_clause 0x1
	global_load_b64 v[16:17], v12, s[16:17] offset:32 scope:SCOPE_SYS
	global_load_b64 v[2:3], v12, s[16:17] offset:40
	s_wait_loadcnt 0x0
	v_dual_mov_b32 v14, s4 :: v_dual_bitop2_b32 v3, s5, v3 bitop3:0x40
	v_and_b32_e32 v2, s4, v2
	s_delay_alu instid0(VALU_DEP_1) | instskip(NEXT) | instid1(VALU_DEP_1)
	v_mul_u64_e32 v[2:3], 24, v[2:3]
	v_add_nc_u64_e32 v[10:11], v[4:5], v[2:3]
	global_store_b64 v[10:11], v[16:17], off
	global_wb scope:SCOPE_SYS
	s_wait_storecnt 0x0
	s_wait_xcnt 0x0
	global_atomic_cmpswap_b64 v[4:5], v12, v[14:17], s[16:17] offset:32 th:TH_ATOMIC_RETURN scope:SCOPE_SYS
	s_wait_loadcnt 0x0
	v_cmpx_ne_u64_e64 v[4:5], v[16:17]
	s_cbranch_execz .LBB0_13
; %bb.11:
	s_mov_b32 s7, 0
.LBB0_12:                               ; =>This Inner Loop Header: Depth=1
	v_dual_mov_b32 v2, s4 :: v_dual_mov_b32 v3, s5
	s_sleep 1
	global_store_b64 v[10:11], v[4:5], off
	global_wb scope:SCOPE_SYS
	s_wait_storecnt 0x0
	s_wait_xcnt 0x0
	global_atomic_cmpswap_b64 v[2:3], v12, v[2:5], s[16:17] offset:32 th:TH_ATOMIC_RETURN scope:SCOPE_SYS
	s_wait_loadcnt 0x0
	v_cmp_eq_u64_e32 vcc_lo, v[2:3], v[4:5]
	v_mov_b64_e32 v[4:5], v[2:3]
	s_or_b32 s7, vcc_lo, s7
	s_delay_alu instid0(SALU_CYCLE_1)
	s_and_not1_b32 exec_lo, exec_lo, s7
	s_cbranch_execnz .LBB0_12
.LBB0_13:
	s_or_b32 exec_lo, exec_lo, s6
	v_mov_b32_e32 v5, 0
	s_mov_b32 s7, exec_lo
	s_mov_b32 s6, exec_lo
	v_mbcnt_lo_u32_b32 v4, s7, 0
	global_load_b64 v[2:3], v5, s[16:17] offset:16
	s_wait_xcnt 0x0
	v_cmpx_eq_u32_e32 0, v4
	s_cbranch_execz .LBB0_15
; %bb.14:
	s_bcnt1_i32_b32 s7, s7
	s_delay_alu instid0(SALU_CYCLE_1)
	v_mov_b32_e32 v4, s7
	global_wb scope:SCOPE_SYS
	s_wait_loadcnt 0x0
	s_wait_storecnt 0x0
	global_atomic_add_u64 v[2:3], v[4:5], off offset:8 scope:SCOPE_SYS
.LBB0_15:
	s_wait_xcnt 0x0
	s_or_b32 exec_lo, exec_lo, s6
	s_wait_loadcnt 0x0
	global_load_b64 v[4:5], v[2:3], off offset:16
	s_wait_loadcnt 0x0
	v_cmp_eq_u64_e32 vcc_lo, 0, v[4:5]
	s_cbranch_vccnz .LBB0_17
; %bb.16:
	global_load_b32 v2, v[2:3], off offset:24
	s_wait_xcnt 0x0
	v_mov_b32_e32 v3, 0
	s_wait_loadcnt 0x0
	v_readfirstlane_b32 s6, v2
	global_wb scope:SCOPE_SYS
	s_wait_storecnt 0x0
	global_store_b64 v[4:5], v[2:3], off scope:SCOPE_SYS
	s_and_b32 m0, s6, 0xffffff
	s_sendmsg sendmsg(MSG_INTERRUPT)
.LBB0_17:
	s_wait_xcnt 0x0
	s_or_b32 exec_lo, exec_lo, s3
	v_add_nc_u64_e32 v[2:3], v[6:7], v[0:1]
	s_branch .LBB0_21
.LBB0_18:                               ;   in Loop: Header=BB0_21 Depth=1
	s_wait_xcnt 0x0
	s_or_b32 exec_lo, exec_lo, s3
	s_delay_alu instid0(VALU_DEP_1)
	v_readfirstlane_b32 s3, v1
	s_cmp_eq_u32 s3, 0
	s_cbranch_scc1 .LBB0_20
; %bb.19:                               ;   in Loop: Header=BB0_21 Depth=1
	s_sleep 1
	s_cbranch_execnz .LBB0_21
	s_branch .LBB0_23
.LBB0_20:
	s_branch .LBB0_23
.LBB0_21:                               ; =>This Inner Loop Header: Depth=1
	v_mov_b32_e32 v1, 1
	s_and_saveexec_b32 s3, s2
	s_cbranch_execz .LBB0_18
; %bb.22:                               ;   in Loop: Header=BB0_21 Depth=1
	global_load_b32 v1, v[8:9], off offset:20 scope:SCOPE_SYS
	s_wait_loadcnt 0x0
	global_inv scope:SCOPE_SYS
	v_and_b32_e32 v1, 1, v1
	s_branch .LBB0_18
.LBB0_23:
	global_load_b64 v[2:3], v[2:3], off
	s_wait_xcnt 0x0
	s_and_saveexec_b32 s6, s2
	s_cbranch_execz .LBB0_27
; %bb.24:
	v_mov_b32_e32 v1, 0
	s_clause 0x2
	global_load_b64 v[4:5], v1, s[16:17] offset:40
	global_load_b64 v[12:13], v1, s[16:17] offset:24 scope:SCOPE_SYS
	global_load_b64 v[6:7], v1, s[16:17]
	s_wait_loadcnt 0x2
	v_readfirstlane_b32 s8, v4
	v_readfirstlane_b32 s9, v5
	s_add_nc_u64 s[2:3], s[8:9], 1
	s_delay_alu instid0(SALU_CYCLE_1) | instskip(NEXT) | instid1(SALU_CYCLE_1)
	s_add_nc_u64 s[4:5], s[2:3], s[4:5]
	s_cmp_eq_u64 s[4:5], 0
	s_cselect_b32 s3, s3, s5
	s_cselect_b32 s2, s2, s4
	v_mov_b32_e32 v11, s3
	s_and_b64 s[4:5], s[2:3], s[8:9]
	v_mov_b32_e32 v10, s2
	s_mul_u64 s[4:5], s[4:5], 24
	s_wait_loadcnt 0x0
	v_add_nc_u64_e32 v[8:9], s[4:5], v[6:7]
	global_store_b64 v[8:9], v[12:13], off
	global_wb scope:SCOPE_SYS
	s_wait_storecnt 0x0
	s_wait_xcnt 0x0
	global_atomic_cmpswap_b64 v[6:7], v1, v[10:13], s[16:17] offset:24 th:TH_ATOMIC_RETURN scope:SCOPE_SYS
	s_wait_loadcnt 0x0
	v_cmp_ne_u64_e32 vcc_lo, v[6:7], v[12:13]
	s_and_b32 exec_lo, exec_lo, vcc_lo
	s_cbranch_execz .LBB0_27
; %bb.25:
	s_mov_b32 s4, 0
.LBB0_26:                               ; =>This Inner Loop Header: Depth=1
	v_dual_mov_b32 v4, s2 :: v_dual_mov_b32 v5, s3
	s_sleep 1
	global_store_b64 v[8:9], v[6:7], off
	global_wb scope:SCOPE_SYS
	s_wait_storecnt 0x0
	s_wait_xcnt 0x0
	global_atomic_cmpswap_b64 v[4:5], v1, v[4:7], s[16:17] offset:24 th:TH_ATOMIC_RETURN scope:SCOPE_SYS
	s_wait_loadcnt 0x0
	v_cmp_eq_u64_e32 vcc_lo, v[4:5], v[6:7]
	v_mov_b64_e32 v[6:7], v[4:5]
	s_or_b32 s4, vcc_lo, s4
	s_delay_alu instid0(SALU_CYCLE_1)
	s_and_not1_b32 exec_lo, exec_lo, s4
	s_cbranch_execnz .LBB0_26
.LBB0_27:
	s_or_b32 exec_lo, exec_lo, s6
	s_get_pc_i64 s[4:5]
	s_add_nc_u64 s[4:5], s[4:5], .str@rel64+4
	s_delay_alu instid0(SALU_CYCLE_1)
	s_cmp_lg_u64 s[4:5], 0
	s_cbranch_scc0 .LBB0_106
; %bb.28:
	v_mov_b64_e32 v[6:7], 0x100000002
	s_wait_loadcnt 0x0
	v_dual_mov_b32 v9, v3 :: v_dual_bitop2_b32 v8, -3, v2 bitop3:0x40
	v_mov_b32_e32 v5, 0
	s_mov_b64 s[6:7], 18
	s_branch .LBB0_30
.LBB0_29:                               ;   in Loop: Header=BB0_30 Depth=1
	s_or_b32 exec_lo, exec_lo, s12
	s_sub_nc_u64 s[6:7], s[6:7], s[8:9]
	s_add_nc_u64 s[4:5], s[4:5], s[8:9]
	s_cmp_lg_u64 s[6:7], 0
	s_cbranch_scc0 .LBB0_105
.LBB0_30:                               ; =>This Loop Header: Depth=1
                                        ;     Child Loop BB0_33 Depth 2
                                        ;     Child Loop BB0_40 Depth 2
	;; [unrolled: 1-line block ×11, first 2 shown]
	s_wait_loadcnt 0x0
	v_min_u64 v[10:11], s[6:7], 56
	v_cmp_gt_u64_e64 s2, s[6:7], 7
	s_and_b32 vcc_lo, exec_lo, s2
	v_readfirstlane_b32 s8, v10
	v_readfirstlane_b32 s9, v11
	s_cbranch_vccnz .LBB0_35
; %bb.31:                               ;   in Loop: Header=BB0_30 Depth=1
	v_mov_b64_e32 v[10:11], 0
	s_cmp_eq_u64 s[6:7], 0
	s_cbranch_scc1 .LBB0_34
; %bb.32:                               ;   in Loop: Header=BB0_30 Depth=1
	s_mov_b64 s[2:3], 0
	s_mov_b64 s[10:11], 0
.LBB0_33:                               ;   Parent Loop BB0_30 Depth=1
                                        ; =>  This Inner Loop Header: Depth=2
	s_wait_xcnt 0x0
	s_add_nc_u64 s[12:13], s[4:5], s[10:11]
	s_add_nc_u64 s[10:11], s[10:11], 1
	global_load_u8 v1, v5, s[12:13]
	s_cmp_lg_u32 s8, s10
	s_wait_loadcnt 0x0
	v_and_b32_e32 v4, 0xffff, v1
	s_delay_alu instid0(VALU_DEP_1) | instskip(SKIP_1) | instid1(VALU_DEP_1)
	v_lshlrev_b64_e32 v[12:13], s2, v[4:5]
	s_add_nc_u64 s[2:3], s[2:3], 8
	v_or_b32_e32 v10, v12, v10
	s_delay_alu instid0(VALU_DEP_2)
	v_or_b32_e32 v11, v13, v11
	s_cbranch_scc1 .LBB0_33
.LBB0_34:                               ;   in Loop: Header=BB0_30 Depth=1
	s_mov_b64 s[10:11], s[4:5]
	s_mov_b32 s14, 0
	s_cbranch_execz .LBB0_36
	s_branch .LBB0_37
.LBB0_35:                               ;   in Loop: Header=BB0_30 Depth=1
	s_add_nc_u64 s[10:11], s[4:5], 8
	s_mov_b32 s14, 0
.LBB0_36:                               ;   in Loop: Header=BB0_30 Depth=1
	global_load_b64 v[10:11], v5, s[4:5]
	s_add_co_i32 s14, s8, -8
.LBB0_37:                               ;   in Loop: Header=BB0_30 Depth=1
	s_delay_alu instid0(SALU_CYCLE_1)
	s_cmp_gt_u32 s14, 7
	s_cbranch_scc1 .LBB0_42
; %bb.38:                               ;   in Loop: Header=BB0_30 Depth=1
	v_mov_b64_e32 v[12:13], 0
	s_cmp_eq_u32 s14, 0
	s_cbranch_scc1 .LBB0_41
; %bb.39:                               ;   in Loop: Header=BB0_30 Depth=1
	s_mov_b64 s[2:3], 0
	s_wait_xcnt 0x0
	s_mov_b64 s[12:13], 0
.LBB0_40:                               ;   Parent Loop BB0_30 Depth=1
                                        ; =>  This Inner Loop Header: Depth=2
	s_wait_xcnt 0x0
	s_add_nc_u64 s[18:19], s[10:11], s[12:13]
	s_add_nc_u64 s[12:13], s[12:13], 1
	global_load_u8 v1, v5, s[18:19]
	s_cmp_lg_u32 s14, s12
	s_wait_loadcnt 0x0
	v_and_b32_e32 v4, 0xffff, v1
	s_delay_alu instid0(VALU_DEP_1) | instskip(SKIP_1) | instid1(VALU_DEP_1)
	v_lshlrev_b64_e32 v[14:15], s2, v[4:5]
	s_add_nc_u64 s[2:3], s[2:3], 8
	v_or_b32_e32 v12, v14, v12
	s_delay_alu instid0(VALU_DEP_2)
	v_or_b32_e32 v13, v15, v13
	s_cbranch_scc1 .LBB0_40
.LBB0_41:                               ;   in Loop: Header=BB0_30 Depth=1
	s_wait_xcnt 0x0
	s_mov_b64 s[2:3], s[10:11]
	s_mov_b32 s15, 0
	s_cbranch_execz .LBB0_43
	s_branch .LBB0_44
.LBB0_42:                               ;   in Loop: Header=BB0_30 Depth=1
	s_add_nc_u64 s[2:3], s[10:11], 8
	s_wait_xcnt 0x0
                                        ; implicit-def: $vgpr12_vgpr13
	s_mov_b32 s15, 0
.LBB0_43:                               ;   in Loop: Header=BB0_30 Depth=1
	global_load_b64 v[12:13], v5, s[10:11]
	s_add_co_i32 s15, s14, -8
.LBB0_44:                               ;   in Loop: Header=BB0_30 Depth=1
	s_delay_alu instid0(SALU_CYCLE_1)
	s_cmp_gt_u32 s15, 7
	s_cbranch_scc1 .LBB0_49
; %bb.45:                               ;   in Loop: Header=BB0_30 Depth=1
	v_mov_b64_e32 v[14:15], 0
	s_cmp_eq_u32 s15, 0
	s_cbranch_scc1 .LBB0_48
; %bb.46:                               ;   in Loop: Header=BB0_30 Depth=1
	s_wait_xcnt 0x0
	s_mov_b64 s[10:11], 0
	s_mov_b64 s[12:13], 0
.LBB0_47:                               ;   Parent Loop BB0_30 Depth=1
                                        ; =>  This Inner Loop Header: Depth=2
	s_wait_xcnt 0x0
	s_add_nc_u64 s[18:19], s[2:3], s[12:13]
	s_add_nc_u64 s[12:13], s[12:13], 1
	global_load_u8 v1, v5, s[18:19]
	s_cmp_lg_u32 s15, s12
	s_wait_loadcnt 0x0
	v_and_b32_e32 v4, 0xffff, v1
	s_delay_alu instid0(VALU_DEP_1) | instskip(SKIP_1) | instid1(VALU_DEP_1)
	v_lshlrev_b64_e32 v[16:17], s10, v[4:5]
	s_add_nc_u64 s[10:11], s[10:11], 8
	v_or_b32_e32 v14, v16, v14
	s_delay_alu instid0(VALU_DEP_2)
	v_or_b32_e32 v15, v17, v15
	s_cbranch_scc1 .LBB0_47
.LBB0_48:                               ;   in Loop: Header=BB0_30 Depth=1
	s_wait_xcnt 0x0
	s_mov_b64 s[10:11], s[2:3]
	s_mov_b32 s14, 0
	s_cbranch_execz .LBB0_50
	s_branch .LBB0_51
.LBB0_49:                               ;   in Loop: Header=BB0_30 Depth=1
	s_wait_xcnt 0x0
	s_add_nc_u64 s[10:11], s[2:3], 8
	s_mov_b32 s14, 0
.LBB0_50:                               ;   in Loop: Header=BB0_30 Depth=1
	global_load_b64 v[14:15], v5, s[2:3]
	s_add_co_i32 s14, s15, -8
.LBB0_51:                               ;   in Loop: Header=BB0_30 Depth=1
	s_delay_alu instid0(SALU_CYCLE_1)
	s_cmp_gt_u32 s14, 7
	s_cbranch_scc1 .LBB0_56
; %bb.52:                               ;   in Loop: Header=BB0_30 Depth=1
	v_mov_b64_e32 v[16:17], 0
	s_cmp_eq_u32 s14, 0
	s_cbranch_scc1 .LBB0_55
; %bb.53:                               ;   in Loop: Header=BB0_30 Depth=1
	s_wait_xcnt 0x0
	s_mov_b64 s[2:3], 0
	s_mov_b64 s[12:13], 0
.LBB0_54:                               ;   Parent Loop BB0_30 Depth=1
                                        ; =>  This Inner Loop Header: Depth=2
	s_wait_xcnt 0x0
	s_add_nc_u64 s[18:19], s[10:11], s[12:13]
	s_add_nc_u64 s[12:13], s[12:13], 1
	global_load_u8 v1, v5, s[18:19]
	s_cmp_lg_u32 s14, s12
	s_wait_loadcnt 0x0
	v_and_b32_e32 v4, 0xffff, v1
	s_delay_alu instid0(VALU_DEP_1) | instskip(SKIP_1) | instid1(VALU_DEP_1)
	v_lshlrev_b64_e32 v[18:19], s2, v[4:5]
	s_add_nc_u64 s[2:3], s[2:3], 8
	v_or_b32_e32 v16, v18, v16
	s_delay_alu instid0(VALU_DEP_2)
	v_or_b32_e32 v17, v19, v17
	s_cbranch_scc1 .LBB0_54
.LBB0_55:                               ;   in Loop: Header=BB0_30 Depth=1
	s_wait_xcnt 0x0
	s_mov_b64 s[2:3], s[10:11]
	s_mov_b32 s15, 0
	s_cbranch_execz .LBB0_57
	s_branch .LBB0_58
.LBB0_56:                               ;   in Loop: Header=BB0_30 Depth=1
	s_wait_xcnt 0x0
	s_add_nc_u64 s[2:3], s[10:11], 8
                                        ; implicit-def: $vgpr16_vgpr17
	s_mov_b32 s15, 0
.LBB0_57:                               ;   in Loop: Header=BB0_30 Depth=1
	global_load_b64 v[16:17], v5, s[10:11]
	s_add_co_i32 s15, s14, -8
.LBB0_58:                               ;   in Loop: Header=BB0_30 Depth=1
	s_delay_alu instid0(SALU_CYCLE_1)
	s_cmp_gt_u32 s15, 7
	s_cbranch_scc1 .LBB0_63
; %bb.59:                               ;   in Loop: Header=BB0_30 Depth=1
	v_mov_b64_e32 v[18:19], 0
	s_cmp_eq_u32 s15, 0
	s_cbranch_scc1 .LBB0_62
; %bb.60:                               ;   in Loop: Header=BB0_30 Depth=1
	s_wait_xcnt 0x0
	s_mov_b64 s[10:11], 0
	s_mov_b64 s[12:13], 0
.LBB0_61:                               ;   Parent Loop BB0_30 Depth=1
                                        ; =>  This Inner Loop Header: Depth=2
	s_wait_xcnt 0x0
	s_add_nc_u64 s[18:19], s[2:3], s[12:13]
	s_add_nc_u64 s[12:13], s[12:13], 1
	global_load_u8 v1, v5, s[18:19]
	s_cmp_lg_u32 s15, s12
	s_wait_loadcnt 0x0
	v_and_b32_e32 v4, 0xffff, v1
	s_delay_alu instid0(VALU_DEP_1) | instskip(SKIP_1) | instid1(VALU_DEP_1)
	v_lshlrev_b64_e32 v[20:21], s10, v[4:5]
	s_add_nc_u64 s[10:11], s[10:11], 8
	v_or_b32_e32 v18, v20, v18
	s_delay_alu instid0(VALU_DEP_2)
	v_or_b32_e32 v19, v21, v19
	s_cbranch_scc1 .LBB0_61
.LBB0_62:                               ;   in Loop: Header=BB0_30 Depth=1
	s_wait_xcnt 0x0
	s_mov_b64 s[10:11], s[2:3]
	s_mov_b32 s14, 0
	s_cbranch_execz .LBB0_64
	s_branch .LBB0_65
.LBB0_63:                               ;   in Loop: Header=BB0_30 Depth=1
	s_wait_xcnt 0x0
	s_add_nc_u64 s[10:11], s[2:3], 8
	s_mov_b32 s14, 0
.LBB0_64:                               ;   in Loop: Header=BB0_30 Depth=1
	global_load_b64 v[18:19], v5, s[2:3]
	s_add_co_i32 s14, s15, -8
.LBB0_65:                               ;   in Loop: Header=BB0_30 Depth=1
	s_delay_alu instid0(SALU_CYCLE_1)
	s_cmp_gt_u32 s14, 7
	s_cbranch_scc1 .LBB0_70
; %bb.66:                               ;   in Loop: Header=BB0_30 Depth=1
	v_mov_b64_e32 v[20:21], 0
	s_cmp_eq_u32 s14, 0
	s_cbranch_scc1 .LBB0_69
; %bb.67:                               ;   in Loop: Header=BB0_30 Depth=1
	s_wait_xcnt 0x0
	s_mov_b64 s[2:3], 0
	s_mov_b64 s[12:13], 0
.LBB0_68:                               ;   Parent Loop BB0_30 Depth=1
                                        ; =>  This Inner Loop Header: Depth=2
	s_wait_xcnt 0x0
	s_add_nc_u64 s[18:19], s[10:11], s[12:13]
	s_add_nc_u64 s[12:13], s[12:13], 1
	global_load_u8 v1, v5, s[18:19]
	s_cmp_lg_u32 s14, s12
	s_wait_loadcnt 0x0
	v_and_b32_e32 v4, 0xffff, v1
	s_delay_alu instid0(VALU_DEP_1) | instskip(SKIP_1) | instid1(VALU_DEP_1)
	v_lshlrev_b64_e32 v[22:23], s2, v[4:5]
	s_add_nc_u64 s[2:3], s[2:3], 8
	v_or_b32_e32 v20, v22, v20
	s_delay_alu instid0(VALU_DEP_2)
	v_or_b32_e32 v21, v23, v21
	s_cbranch_scc1 .LBB0_68
.LBB0_69:                               ;   in Loop: Header=BB0_30 Depth=1
	s_wait_xcnt 0x0
	s_mov_b64 s[2:3], s[10:11]
	s_mov_b32 s15, 0
	s_cbranch_execz .LBB0_71
	s_branch .LBB0_72
.LBB0_70:                               ;   in Loop: Header=BB0_30 Depth=1
	s_wait_xcnt 0x0
	s_add_nc_u64 s[2:3], s[10:11], 8
                                        ; implicit-def: $vgpr20_vgpr21
	s_mov_b32 s15, 0
.LBB0_71:                               ;   in Loop: Header=BB0_30 Depth=1
	global_load_b64 v[20:21], v5, s[10:11]
	s_add_co_i32 s15, s14, -8
.LBB0_72:                               ;   in Loop: Header=BB0_30 Depth=1
	s_delay_alu instid0(SALU_CYCLE_1)
	s_cmp_gt_u32 s15, 7
	s_cbranch_scc1 .LBB0_77
; %bb.73:                               ;   in Loop: Header=BB0_30 Depth=1
	v_mov_b64_e32 v[22:23], 0
	s_cmp_eq_u32 s15, 0
	s_cbranch_scc1 .LBB0_76
; %bb.74:                               ;   in Loop: Header=BB0_30 Depth=1
	s_wait_xcnt 0x0
	s_mov_b64 s[10:11], 0
	s_mov_b64 s[12:13], s[2:3]
.LBB0_75:                               ;   Parent Loop BB0_30 Depth=1
                                        ; =>  This Inner Loop Header: Depth=2
	global_load_u8 v1, v5, s[12:13]
	s_add_co_i32 s15, s15, -1
	s_wait_xcnt 0x0
	s_add_nc_u64 s[12:13], s[12:13], 1
	s_cmp_lg_u32 s15, 0
	s_wait_loadcnt 0x0
	v_and_b32_e32 v4, 0xffff, v1
	s_delay_alu instid0(VALU_DEP_1) | instskip(SKIP_1) | instid1(VALU_DEP_1)
	v_lshlrev_b64_e32 v[24:25], s10, v[4:5]
	s_add_nc_u64 s[10:11], s[10:11], 8
	v_or_b32_e32 v22, v24, v22
	s_delay_alu instid0(VALU_DEP_2)
	v_or_b32_e32 v23, v25, v23
	s_cbranch_scc1 .LBB0_75
.LBB0_76:                               ;   in Loop: Header=BB0_30 Depth=1
	s_wait_xcnt 0x0
	s_cbranch_execz .LBB0_78
	s_branch .LBB0_79
.LBB0_77:                               ;   in Loop: Header=BB0_30 Depth=1
	s_wait_xcnt 0x0
.LBB0_78:                               ;   in Loop: Header=BB0_30 Depth=1
	global_load_b64 v[22:23], v5, s[2:3]
.LBB0_79:                               ;   in Loop: Header=BB0_30 Depth=1
	s_wait_xcnt 0x0
	v_readfirstlane_b32 s2, v46
	v_mov_b64_e32 v[28:29], 0
	s_delay_alu instid0(VALU_DEP_2)
	v_cmp_eq_u32_e64 s2, s2, v46
	s_and_saveexec_b32 s3, s2
	s_cbranch_execz .LBB0_85
; %bb.80:                               ;   in Loop: Header=BB0_30 Depth=1
	global_load_b64 v[26:27], v5, s[16:17] offset:24 scope:SCOPE_SYS
	s_wait_loadcnt 0x0
	global_inv scope:SCOPE_SYS
	s_clause 0x1
	global_load_b64 v[24:25], v5, s[16:17] offset:40
	global_load_b64 v[28:29], v5, s[16:17]
	s_mov_b32 s10, exec_lo
	s_wait_loadcnt 0x1
	v_and_b32_e32 v24, v24, v26
	v_and_b32_e32 v25, v25, v27
	s_delay_alu instid0(VALU_DEP_1) | instskip(SKIP_1) | instid1(VALU_DEP_1)
	v_mul_u64_e32 v[24:25], 24, v[24:25]
	s_wait_loadcnt 0x0
	v_add_nc_u64_e32 v[24:25], v[28:29], v[24:25]
	global_load_b64 v[24:25], v[24:25], off scope:SCOPE_SYS
	s_wait_xcnt 0x0
	s_wait_loadcnt 0x0
	global_atomic_cmpswap_b64 v[28:29], v5, v[24:27], s[16:17] offset:24 th:TH_ATOMIC_RETURN scope:SCOPE_SYS
	s_wait_loadcnt 0x0
	global_inv scope:SCOPE_SYS
	s_wait_xcnt 0x0
	v_cmpx_ne_u64_e64 v[28:29], v[26:27]
	s_cbranch_execz .LBB0_84
; %bb.81:                               ;   in Loop: Header=BB0_30 Depth=1
	s_mov_b32 s11, 0
.LBB0_82:                               ;   Parent Loop BB0_30 Depth=1
                                        ; =>  This Inner Loop Header: Depth=2
	s_sleep 1
	s_clause 0x1
	global_load_b64 v[24:25], v5, s[16:17] offset:40
	global_load_b64 v[30:31], v5, s[16:17]
	v_mov_b64_e32 v[26:27], v[28:29]
	s_wait_loadcnt 0x1
	s_delay_alu instid0(VALU_DEP_1) | instskip(SKIP_1) | instid1(VALU_DEP_1)
	v_and_b32_e32 v1, v24, v26
	s_wait_loadcnt 0x0
	v_mad_nc_u64_u32 v[28:29], v1, 24, v[30:31]
	s_delay_alu instid0(VALU_DEP_3) | instskip(NEXT) | instid1(VALU_DEP_1)
	v_and_b32_e32 v1, v25, v27
	v_mad_u32 v29, v1, 24, v29
	global_load_b64 v[24:25], v[28:29], off scope:SCOPE_SYS
	s_wait_xcnt 0x0
	s_wait_loadcnt 0x0
	global_atomic_cmpswap_b64 v[28:29], v5, v[24:27], s[16:17] offset:24 th:TH_ATOMIC_RETURN scope:SCOPE_SYS
	s_wait_loadcnt 0x0
	global_inv scope:SCOPE_SYS
	v_cmp_eq_u64_e32 vcc_lo, v[28:29], v[26:27]
	s_or_b32 s11, vcc_lo, s11
	s_wait_xcnt 0x0
	s_and_not1_b32 exec_lo, exec_lo, s11
	s_cbranch_execnz .LBB0_82
; %bb.83:                               ;   in Loop: Header=BB0_30 Depth=1
	s_or_b32 exec_lo, exec_lo, s11
.LBB0_84:                               ;   in Loop: Header=BB0_30 Depth=1
	s_delay_alu instid0(SALU_CYCLE_1)
	s_or_b32 exec_lo, exec_lo, s10
.LBB0_85:                               ;   in Loop: Header=BB0_30 Depth=1
	s_delay_alu instid0(SALU_CYCLE_1)
	s_or_b32 exec_lo, exec_lo, s3
	s_clause 0x1
	global_load_b64 v[30:31], v5, s[16:17] offset:40
	global_load_b128 v[24:27], v5, s[16:17]
	v_readfirstlane_b32 s10, v28
	v_readfirstlane_b32 s11, v29
	s_mov_b32 s3, exec_lo
	s_wait_loadcnt 0x1
	v_and_b32_e32 v30, s10, v30
	v_and_b32_e32 v31, s11, v31
	s_delay_alu instid0(VALU_DEP_1) | instskip(SKIP_1) | instid1(VALU_DEP_1)
	v_mul_u64_e32 v[28:29], 24, v[30:31]
	s_wait_loadcnt 0x0
	v_add_nc_u64_e32 v[28:29], v[24:25], v[28:29]
	s_wait_xcnt 0x0
	s_and_saveexec_b32 s12, s2
	s_cbranch_execz .LBB0_87
; %bb.86:                               ;   in Loop: Header=BB0_30 Depth=1
	v_mov_b32_e32 v4, s3
	global_store_b128 v[28:29], v[4:7], off offset:8
.LBB0_87:                               ;   in Loop: Header=BB0_30 Depth=1
	s_wait_xcnt 0x0
	s_or_b32 exec_lo, exec_lo, s12
	v_cmp_gt_u64_e64 s3, s[6:7], 56
	v_lshlrev_b64_e32 v[30:31], 12, v[30:31]
	v_and_b32_e32 v1, 0xffffff1f, v8
	s_and_b32 s3, s3, exec_lo
	s_delay_alu instid0(VALU_DEP_2) | instskip(SKIP_4) | instid1(VALU_DEP_2)
	v_add_nc_u64_e32 v[26:27], v[26:27], v[30:31]
	s_cselect_b32 s3, 0, 2
	s_lshl_b32 s12, s8, 2
	v_or_b32_e32 v1, s3, v1
	s_add_co_i32 s3, s12, 28
	v_readfirstlane_b32 s12, v26
	s_delay_alu instid0(VALU_DEP_3) | instskip(NEXT) | instid1(VALU_DEP_3)
	v_readfirstlane_b32 s13, v27
	v_and_or_b32 v8, 0x1e0, s3, v1
	s_clause 0x3
	global_store_b128 v0, v[8:11], s[12:13]
	global_store_b128 v0, v[12:15], s[12:13] offset:16
	global_store_b128 v0, v[16:19], s[12:13] offset:32
	;; [unrolled: 1-line block ×3, first 2 shown]
	s_wait_xcnt 0x0
	s_and_saveexec_b32 s3, s2
	s_cbranch_execz .LBB0_95
; %bb.88:                               ;   in Loop: Header=BB0_30 Depth=1
	s_clause 0x1
	global_load_b64 v[16:17], v5, s[16:17] offset:32 scope:SCOPE_SYS
	global_load_b64 v[8:9], v5, s[16:17] offset:40
	s_mov_b32 s12, exec_lo
	v_dual_mov_b32 v14, s10 :: v_dual_mov_b32 v15, s11
	s_wait_loadcnt 0x0
	v_and_b32_e32 v9, s11, v9
	v_and_b32_e32 v8, s10, v8
	s_delay_alu instid0(VALU_DEP_1) | instskip(NEXT) | instid1(VALU_DEP_1)
	v_mul_u64_e32 v[8:9], 24, v[8:9]
	v_add_nc_u64_e32 v[12:13], v[24:25], v[8:9]
	global_store_b64 v[12:13], v[16:17], off
	global_wb scope:SCOPE_SYS
	s_wait_storecnt 0x0
	s_wait_xcnt 0x0
	global_atomic_cmpswap_b64 v[10:11], v5, v[14:17], s[16:17] offset:32 th:TH_ATOMIC_RETURN scope:SCOPE_SYS
	s_wait_loadcnt 0x0
	v_cmpx_ne_u64_e64 v[10:11], v[16:17]
	s_cbranch_execz .LBB0_91
; %bb.89:                               ;   in Loop: Header=BB0_30 Depth=1
	s_mov_b32 s13, 0
.LBB0_90:                               ;   Parent Loop BB0_30 Depth=1
                                        ; =>  This Inner Loop Header: Depth=2
	v_dual_mov_b32 v8, s10 :: v_dual_mov_b32 v9, s11
	s_sleep 1
	global_store_b64 v[12:13], v[10:11], off
	global_wb scope:SCOPE_SYS
	s_wait_storecnt 0x0
	s_wait_xcnt 0x0
	global_atomic_cmpswap_b64 v[8:9], v5, v[8:11], s[16:17] offset:32 th:TH_ATOMIC_RETURN scope:SCOPE_SYS
	s_wait_loadcnt 0x0
	v_cmp_eq_u64_e32 vcc_lo, v[8:9], v[10:11]
	v_mov_b64_e32 v[10:11], v[8:9]
	s_or_b32 s13, vcc_lo, s13
	s_delay_alu instid0(SALU_CYCLE_1)
	s_and_not1_b32 exec_lo, exec_lo, s13
	s_cbranch_execnz .LBB0_90
.LBB0_91:                               ;   in Loop: Header=BB0_30 Depth=1
	s_or_b32 exec_lo, exec_lo, s12
	global_load_b64 v[8:9], v5, s[16:17] offset:16
	s_mov_b32 s13, exec_lo
	s_mov_b32 s12, exec_lo
	v_mbcnt_lo_u32_b32 v1, s13, 0
	s_wait_xcnt 0x0
	s_delay_alu instid0(VALU_DEP_1)
	v_cmpx_eq_u32_e32 0, v1
	s_cbranch_execz .LBB0_93
; %bb.92:                               ;   in Loop: Header=BB0_30 Depth=1
	s_bcnt1_i32_b32 s13, s13
	s_delay_alu instid0(SALU_CYCLE_1)
	v_mov_b32_e32 v4, s13
	global_wb scope:SCOPE_SYS
	s_wait_loadcnt 0x0
	s_wait_storecnt 0x0
	global_atomic_add_u64 v[8:9], v[4:5], off offset:8 scope:SCOPE_SYS
.LBB0_93:                               ;   in Loop: Header=BB0_30 Depth=1
	s_wait_xcnt 0x0
	s_or_b32 exec_lo, exec_lo, s12
	s_wait_loadcnt 0x0
	global_load_b64 v[10:11], v[8:9], off offset:16
	s_wait_loadcnt 0x0
	v_cmp_eq_u64_e32 vcc_lo, 0, v[10:11]
	s_cbranch_vccnz .LBB0_95
; %bb.94:                               ;   in Loop: Header=BB0_30 Depth=1
	global_load_b32 v4, v[8:9], off offset:24
	s_wait_loadcnt 0x0
	v_readfirstlane_b32 s12, v4
	global_wb scope:SCOPE_SYS
	s_wait_storecnt 0x0
	s_wait_xcnt 0x0
	global_store_b64 v[10:11], v[4:5], off scope:SCOPE_SYS
	s_and_b32 m0, s12, 0xffffff
	s_sendmsg sendmsg(MSG_INTERRUPT)
.LBB0_95:                               ;   in Loop: Header=BB0_30 Depth=1
	s_wait_xcnt 0x0
	s_or_b32 exec_lo, exec_lo, s3
	v_mov_b32_e32 v1, v5
	s_delay_alu instid0(VALU_DEP_1)
	v_add_nc_u64_e32 v[8:9], v[26:27], v[0:1]
	s_branch .LBB0_99
.LBB0_96:                               ;   in Loop: Header=BB0_99 Depth=2
	s_wait_xcnt 0x0
	s_or_b32 exec_lo, exec_lo, s3
	s_delay_alu instid0(VALU_DEP_1)
	v_readfirstlane_b32 s3, v1
	s_cmp_eq_u32 s3, 0
	s_cbranch_scc1 .LBB0_98
; %bb.97:                               ;   in Loop: Header=BB0_99 Depth=2
	s_sleep 1
	s_cbranch_execnz .LBB0_99
	s_branch .LBB0_101
.LBB0_98:                               ;   in Loop: Header=BB0_30 Depth=1
	s_branch .LBB0_101
.LBB0_99:                               ;   Parent Loop BB0_30 Depth=1
                                        ; =>  This Inner Loop Header: Depth=2
	v_mov_b32_e32 v1, 1
	s_and_saveexec_b32 s3, s2
	s_cbranch_execz .LBB0_96
; %bb.100:                              ;   in Loop: Header=BB0_99 Depth=2
	global_load_b32 v1, v[28:29], off offset:20 scope:SCOPE_SYS
	s_wait_loadcnt 0x0
	global_inv scope:SCOPE_SYS
	v_and_b32_e32 v1, 1, v1
	s_branch .LBB0_96
.LBB0_101:                              ;   in Loop: Header=BB0_30 Depth=1
	global_load_b128 v[8:11], v[8:9], off
	s_wait_xcnt 0x0
	s_and_saveexec_b32 s12, s2
	s_cbranch_execz .LBB0_29
; %bb.102:                              ;   in Loop: Header=BB0_30 Depth=1
	s_wait_loadcnt 0x0
	s_clause 0x2
	global_load_b64 v[10:11], v5, s[16:17] offset:40
	global_load_b64 v[18:19], v5, s[16:17] offset:24 scope:SCOPE_SYS
	global_load_b64 v[12:13], v5, s[16:17]
	s_wait_loadcnt 0x2
	v_readfirstlane_b32 s14, v10
	v_readfirstlane_b32 s15, v11
	s_add_nc_u64 s[2:3], s[14:15], 1
	s_delay_alu instid0(SALU_CYCLE_1) | instskip(NEXT) | instid1(SALU_CYCLE_1)
	s_add_nc_u64 s[10:11], s[2:3], s[10:11]
	s_cmp_eq_u64 s[10:11], 0
	s_cselect_b32 s3, s3, s11
	s_cselect_b32 s2, s2, s10
	s_delay_alu instid0(SALU_CYCLE_1) | instskip(SKIP_1) | instid1(SALU_CYCLE_1)
	v_dual_mov_b32 v17, s3 :: v_dual_mov_b32 v16, s2
	s_and_b64 s[10:11], s[2:3], s[14:15]
	s_mul_u64 s[10:11], s[10:11], 24
	s_wait_loadcnt 0x0
	v_add_nc_u64_e32 v[14:15], s[10:11], v[12:13]
	global_store_b64 v[14:15], v[18:19], off
	global_wb scope:SCOPE_SYS
	s_wait_storecnt 0x0
	s_wait_xcnt 0x0
	global_atomic_cmpswap_b64 v[12:13], v5, v[16:19], s[16:17] offset:24 th:TH_ATOMIC_RETURN scope:SCOPE_SYS
	s_wait_loadcnt 0x0
	v_cmp_ne_u64_e32 vcc_lo, v[12:13], v[18:19]
	s_and_b32 exec_lo, exec_lo, vcc_lo
	s_cbranch_execz .LBB0_29
; %bb.103:                              ;   in Loop: Header=BB0_30 Depth=1
	s_mov_b32 s10, 0
.LBB0_104:                              ;   Parent Loop BB0_30 Depth=1
                                        ; =>  This Inner Loop Header: Depth=2
	v_dual_mov_b32 v10, s2 :: v_dual_mov_b32 v11, s3
	s_sleep 1
	global_store_b64 v[14:15], v[12:13], off
	global_wb scope:SCOPE_SYS
	s_wait_storecnt 0x0
	s_wait_xcnt 0x0
	global_atomic_cmpswap_b64 v[10:11], v5, v[10:13], s[16:17] offset:24 th:TH_ATOMIC_RETURN scope:SCOPE_SYS
	s_wait_loadcnt 0x0
	v_cmp_eq_u64_e32 vcc_lo, v[10:11], v[12:13]
	v_mov_b64_e32 v[12:13], v[10:11]
	s_or_b32 s10, vcc_lo, s10
	s_delay_alu instid0(SALU_CYCLE_1)
	s_and_not1_b32 exec_lo, exec_lo, s10
	s_cbranch_execnz .LBB0_104
	s_branch .LBB0_29
.LBB0_105:
	s_branch .LBB0_134
.LBB0_106:
	s_cbranch_execz .LBB0_134
; %bb.107:
	v_readfirstlane_b32 s2, v46
	s_wait_loadcnt 0x0
	v_mov_b64_e32 v[10:11], 0
	s_delay_alu instid0(VALU_DEP_2)
	v_cmp_eq_u32_e64 s2, s2, v46
	s_and_saveexec_b32 s3, s2
	s_cbranch_execz .LBB0_113
; %bb.108:
	v_mov_b32_e32 v1, 0
	s_mov_b32 s4, exec_lo
	global_load_b64 v[6:7], v1, s[16:17] offset:24 scope:SCOPE_SYS
	s_wait_loadcnt 0x0
	global_inv scope:SCOPE_SYS
	s_clause 0x1
	global_load_b64 v[4:5], v1, s[16:17] offset:40
	global_load_b64 v[8:9], v1, s[16:17]
	s_wait_loadcnt 0x1
	v_and_b32_e32 v4, v4, v6
	v_and_b32_e32 v5, v5, v7
	s_delay_alu instid0(VALU_DEP_1) | instskip(SKIP_1) | instid1(VALU_DEP_1)
	v_mul_u64_e32 v[4:5], 24, v[4:5]
	s_wait_loadcnt 0x0
	v_add_nc_u64_e32 v[4:5], v[8:9], v[4:5]
	global_load_b64 v[4:5], v[4:5], off scope:SCOPE_SYS
	s_wait_xcnt 0x0
	s_wait_loadcnt 0x0
	global_atomic_cmpswap_b64 v[10:11], v1, v[4:7], s[16:17] offset:24 th:TH_ATOMIC_RETURN scope:SCOPE_SYS
	s_wait_loadcnt 0x0
	global_inv scope:SCOPE_SYS
	s_wait_xcnt 0x0
	v_cmpx_ne_u64_e64 v[10:11], v[6:7]
	s_cbranch_execz .LBB0_112
; %bb.109:
	s_mov_b32 s5, 0
.LBB0_110:                              ; =>This Inner Loop Header: Depth=1
	s_sleep 1
	s_clause 0x1
	global_load_b64 v[4:5], v1, s[16:17] offset:40
	global_load_b64 v[8:9], v1, s[16:17]
	v_mov_b64_e32 v[6:7], v[10:11]
	s_wait_loadcnt 0x1
	s_delay_alu instid0(VALU_DEP_1) | instskip(SKIP_1) | instid1(VALU_DEP_1)
	v_and_b32_e32 v4, v4, v6
	s_wait_loadcnt 0x0
	v_mad_nc_u64_u32 v[8:9], v4, 24, v[8:9]
	s_delay_alu instid0(VALU_DEP_3) | instskip(NEXT) | instid1(VALU_DEP_1)
	v_and_b32_e32 v4, v5, v7
	v_mad_u32 v9, v4, 24, v9
	global_load_b64 v[4:5], v[8:9], off scope:SCOPE_SYS
	s_wait_xcnt 0x0
	s_wait_loadcnt 0x0
	global_atomic_cmpswap_b64 v[10:11], v1, v[4:7], s[16:17] offset:24 th:TH_ATOMIC_RETURN scope:SCOPE_SYS
	s_wait_loadcnt 0x0
	global_inv scope:SCOPE_SYS
	v_cmp_eq_u64_e32 vcc_lo, v[10:11], v[6:7]
	s_or_b32 s5, vcc_lo, s5
	s_wait_xcnt 0x0
	s_and_not1_b32 exec_lo, exec_lo, s5
	s_cbranch_execnz .LBB0_110
; %bb.111:
	s_or_b32 exec_lo, exec_lo, s5
.LBB0_112:
	s_delay_alu instid0(SALU_CYCLE_1)
	s_or_b32 exec_lo, exec_lo, s4
.LBB0_113:
	s_delay_alu instid0(SALU_CYCLE_1)
	s_or_b32 exec_lo, exec_lo, s3
	v_readfirstlane_b32 s4, v10
	v_mov_b32_e32 v4, 0
	v_readfirstlane_b32 s5, v11
	s_mov_b32 s3, exec_lo
	s_clause 0x1
	global_load_b64 v[12:13], v4, s[16:17] offset:40
	global_load_b128 v[6:9], v4, s[16:17]
	s_wait_loadcnt 0x1
	v_and_b32_e32 v12, s4, v12
	v_and_b32_e32 v13, s5, v13
	s_delay_alu instid0(VALU_DEP_1) | instskip(SKIP_1) | instid1(VALU_DEP_1)
	v_mul_u64_e32 v[10:11], 24, v[12:13]
	s_wait_loadcnt 0x0
	v_add_nc_u64_e32 v[10:11], v[6:7], v[10:11]
	s_wait_xcnt 0x0
	s_and_saveexec_b32 s6, s2
	s_cbranch_execz .LBB0_115
; %bb.114:
	v_mov_b64_e32 v[16:17], 0x100000002
	v_dual_mov_b32 v14, s3 :: v_dual_mov_b32 v15, v4
	global_store_b128 v[10:11], v[14:17], off offset:8
.LBB0_115:
	s_wait_xcnt 0x0
	s_or_b32 exec_lo, exec_lo, s6
	v_lshlrev_b64_e32 v[12:13], 12, v[12:13]
	s_mov_b32 s8, 0
	v_and_or_b32 v2, 0xffffff1d, v2, 34
	s_mov_b32 s10, s8
	s_mov_b32 s11, s8
	;; [unrolled: 1-line block ×3, first 2 shown]
	v_mov_b32_e32 v5, v4
	v_add_nc_u64_e32 v[8:9], v[8:9], v[12:13]
	v_mov_b64_e32 v[14:15], s[10:11]
	v_mov_b64_e32 v[12:13], s[8:9]
	s_delay_alu instid0(VALU_DEP_3) | instskip(NEXT) | instid1(VALU_DEP_4)
	v_readfirstlane_b32 s6, v8
	v_readfirstlane_b32 s7, v9
	s_clause 0x3
	global_store_b128 v0, v[2:5], s[6:7]
	global_store_b128 v0, v[12:15], s[6:7] offset:16
	global_store_b128 v0, v[12:15], s[6:7] offset:32
	;; [unrolled: 1-line block ×3, first 2 shown]
	s_wait_xcnt 0x0
	s_and_saveexec_b32 s3, s2
	s_cbranch_execz .LBB0_123
; %bb.116:
	v_dual_mov_b32 v1, 0 :: v_dual_mov_b32 v13, s5
	s_mov_b32 s6, exec_lo
	s_clause 0x1
	global_load_b64 v[14:15], v1, s[16:17] offset:32 scope:SCOPE_SYS
	global_load_b64 v[2:3], v1, s[16:17] offset:40
	s_wait_loadcnt 0x0
	v_dual_mov_b32 v12, s4 :: v_dual_bitop2_b32 v3, s5, v3 bitop3:0x40
	v_and_b32_e32 v2, s4, v2
	s_delay_alu instid0(VALU_DEP_1) | instskip(NEXT) | instid1(VALU_DEP_1)
	v_mul_u64_e32 v[2:3], 24, v[2:3]
	v_add_nc_u64_e32 v[6:7], v[6:7], v[2:3]
	global_store_b64 v[6:7], v[14:15], off
	global_wb scope:SCOPE_SYS
	s_wait_storecnt 0x0
	s_wait_xcnt 0x0
	global_atomic_cmpswap_b64 v[4:5], v1, v[12:15], s[16:17] offset:32 th:TH_ATOMIC_RETURN scope:SCOPE_SYS
	s_wait_loadcnt 0x0
	v_cmpx_ne_u64_e64 v[4:5], v[14:15]
	s_cbranch_execz .LBB0_119
; %bb.117:
	s_mov_b32 s7, 0
.LBB0_118:                              ; =>This Inner Loop Header: Depth=1
	v_dual_mov_b32 v2, s4 :: v_dual_mov_b32 v3, s5
	s_sleep 1
	global_store_b64 v[6:7], v[4:5], off
	global_wb scope:SCOPE_SYS
	s_wait_storecnt 0x0
	s_wait_xcnt 0x0
	global_atomic_cmpswap_b64 v[2:3], v1, v[2:5], s[16:17] offset:32 th:TH_ATOMIC_RETURN scope:SCOPE_SYS
	s_wait_loadcnt 0x0
	v_cmp_eq_u64_e32 vcc_lo, v[2:3], v[4:5]
	v_mov_b64_e32 v[4:5], v[2:3]
	s_or_b32 s7, vcc_lo, s7
	s_delay_alu instid0(SALU_CYCLE_1)
	s_and_not1_b32 exec_lo, exec_lo, s7
	s_cbranch_execnz .LBB0_118
.LBB0_119:
	s_or_b32 exec_lo, exec_lo, s6
	v_mov_b32_e32 v5, 0
	s_mov_b32 s7, exec_lo
	s_mov_b32 s6, exec_lo
	v_mbcnt_lo_u32_b32 v1, s7, 0
	global_load_b64 v[2:3], v5, s[16:17] offset:16
	s_wait_xcnt 0x0
	v_cmpx_eq_u32_e32 0, v1
	s_cbranch_execz .LBB0_121
; %bb.120:
	s_bcnt1_i32_b32 s7, s7
	s_delay_alu instid0(SALU_CYCLE_1)
	v_mov_b32_e32 v4, s7
	global_wb scope:SCOPE_SYS
	s_wait_loadcnt 0x0
	s_wait_storecnt 0x0
	global_atomic_add_u64 v[2:3], v[4:5], off offset:8 scope:SCOPE_SYS
.LBB0_121:
	s_wait_xcnt 0x0
	s_or_b32 exec_lo, exec_lo, s6
	s_wait_loadcnt 0x0
	global_load_b64 v[4:5], v[2:3], off offset:16
	s_wait_loadcnt 0x0
	v_cmp_eq_u64_e32 vcc_lo, 0, v[4:5]
	s_cbranch_vccnz .LBB0_123
; %bb.122:
	global_load_b32 v2, v[2:3], off offset:24
	s_wait_xcnt 0x0
	v_mov_b32_e32 v3, 0
	s_wait_loadcnt 0x0
	v_readfirstlane_b32 s6, v2
	global_wb scope:SCOPE_SYS
	s_wait_storecnt 0x0
	global_store_b64 v[4:5], v[2:3], off scope:SCOPE_SYS
	s_and_b32 m0, s6, 0xffffff
	s_sendmsg sendmsg(MSG_INTERRUPT)
.LBB0_123:
	s_wait_xcnt 0x0
	s_or_b32 exec_lo, exec_lo, s3
	s_branch .LBB0_127
.LBB0_124:                              ;   in Loop: Header=BB0_127 Depth=1
	s_wait_xcnt 0x0
	s_or_b32 exec_lo, exec_lo, s3
	s_delay_alu instid0(VALU_DEP_1)
	v_readfirstlane_b32 s3, v1
	s_cmp_eq_u32 s3, 0
	s_cbranch_scc1 .LBB0_126
; %bb.125:                              ;   in Loop: Header=BB0_127 Depth=1
	s_sleep 1
	s_cbranch_execnz .LBB0_127
	s_branch .LBB0_129
.LBB0_126:
	s_branch .LBB0_129
.LBB0_127:                              ; =>This Inner Loop Header: Depth=1
	v_mov_b32_e32 v1, 1
	s_and_saveexec_b32 s3, s2
	s_cbranch_execz .LBB0_124
; %bb.128:                              ;   in Loop: Header=BB0_127 Depth=1
	global_load_b32 v1, v[10:11], off offset:20 scope:SCOPE_SYS
	s_wait_loadcnt 0x0
	global_inv scope:SCOPE_SYS
	v_and_b32_e32 v1, 1, v1
	s_branch .LBB0_124
.LBB0_129:
	s_and_saveexec_b32 s6, s2
	s_cbranch_execz .LBB0_133
; %bb.130:
	v_mov_b32_e32 v1, 0
	s_clause 0x2
	global_load_b64 v[2:3], v1, s[16:17] offset:40
	global_load_b64 v[10:11], v1, s[16:17] offset:24 scope:SCOPE_SYS
	global_load_b64 v[4:5], v1, s[16:17]
	s_wait_loadcnt 0x2
	v_readfirstlane_b32 s8, v2
	v_readfirstlane_b32 s9, v3
	s_add_nc_u64 s[2:3], s[8:9], 1
	s_delay_alu instid0(SALU_CYCLE_1) | instskip(NEXT) | instid1(SALU_CYCLE_1)
	s_add_nc_u64 s[4:5], s[2:3], s[4:5]
	s_cmp_eq_u64 s[4:5], 0
	s_cselect_b32 s3, s3, s5
	s_cselect_b32 s2, s2, s4
	v_mov_b32_e32 v9, s3
	s_and_b64 s[4:5], s[2:3], s[8:9]
	v_mov_b32_e32 v8, s2
	s_mul_u64 s[4:5], s[4:5], 24
	s_wait_loadcnt 0x0
	v_add_nc_u64_e32 v[6:7], s[4:5], v[4:5]
	global_store_b64 v[6:7], v[10:11], off
	global_wb scope:SCOPE_SYS
	s_wait_storecnt 0x0
	s_wait_xcnt 0x0
	global_atomic_cmpswap_b64 v[4:5], v1, v[8:11], s[16:17] offset:24 th:TH_ATOMIC_RETURN scope:SCOPE_SYS
	s_wait_loadcnt 0x0
	v_cmp_ne_u64_e32 vcc_lo, v[4:5], v[10:11]
	s_and_b32 exec_lo, exec_lo, vcc_lo
	s_cbranch_execz .LBB0_133
; %bb.131:
	s_mov_b32 s4, 0
.LBB0_132:                              ; =>This Inner Loop Header: Depth=1
	v_dual_mov_b32 v2, s2 :: v_dual_mov_b32 v3, s3
	s_sleep 1
	global_store_b64 v[6:7], v[4:5], off
	global_wb scope:SCOPE_SYS
	s_wait_storecnt 0x0
	s_wait_xcnt 0x0
	global_atomic_cmpswap_b64 v[2:3], v1, v[2:5], s[16:17] offset:24 th:TH_ATOMIC_RETURN scope:SCOPE_SYS
	s_wait_loadcnt 0x0
	v_cmp_eq_u64_e32 vcc_lo, v[2:3], v[4:5]
	v_mov_b64_e32 v[4:5], v[2:3]
	s_or_b32 s4, vcc_lo, s4
	s_delay_alu instid0(SALU_CYCLE_1)
	s_and_not1_b32 exec_lo, exec_lo, s4
	s_cbranch_execnz .LBB0_132
.LBB0_133:
	s_or_b32 exec_lo, exec_lo, s6
.LBB0_134:
	s_clause 0x2
	s_load_b96 s[12:14], s[0:1], 0x18
	s_load_b128 s[4:7], s[0:1], 0x0
	s_load_b64 s[2:3], s[0:1], 0x10
	s_get_pc_i64 s[18:19]
	s_add_nc_u64 s[18:19], s[18:19], .str.5@rel64+4
	s_get_pc_i64 s[20:21]
	s_add_nc_u64 s[20:21], s[20:21], .str.3@rel64+4
	;; [unrolled: 2-line block ×3, first 2 shown]
	s_wait_kmcnt 0x0
	s_add_co_i32 s12, s12, 1
	s_delay_alu instid0(SALU_CYCLE_1)
	s_cmp_ge_i32 s12, s14
	s_cbranch_scc1 .LBB0_836
; %bb.135:
	s_mov_b32 s8, 0
	s_get_pc_i64 s[24:25]
	s_add_nc_u64 s[24:25], s[24:25], .str.1@rel64+4
	s_wait_loadcnt 0x0
	v_dual_mov_b32 v3, 0 :: v_dual_mov_b32 v40, v0
	s_mov_b32 s10, s8
	s_mov_b32 s11, s8
	;; [unrolled: 1-line block ×3, first 2 shown]
	s_get_pc_i64 s[26:27]
	s_add_nc_u64 s[26:27], s[26:27], .str.2@rel64+4
	s_cmp_lg_u64 s[24:25], 0
	v_mov_b64_e32 v[16:17], s[10:11]
	v_mov_b64_e32 v[4:5], 0x100000002
	;; [unrolled: 1-line block ×3, first 2 shown]
	s_get_pc_i64 s[28:29]
	s_add_nc_u64 s[28:29], s[28:29], .str.5@rel64+4
	s_cselect_b32 s15, -1, 0
	s_cmp_lg_u64 s[26:27], 0
	v_dual_mov_b32 v41, v3 :: v_dual_mov_b32 v6, 33
	v_dual_mov_b32 v10, 33 :: v_dual_mov_b32 v11, v3
	;; [unrolled: 1-line block ×3, first 2 shown]
	s_cselect_b32 s33, -1, 0
	s_cmp_lg_u64 s[28:29], 0
	s_cselect_b32 s42, -1, 0
	s_branch .LBB0_137
.LBB0_136:                              ;   in Loop: Header=BB0_137 Depth=1
	s_or_b32 exec_lo, exec_lo, s34
	s_add_co_i32 s12, s12, 1
	s_delay_alu instid0(SALU_CYCLE_1)
	s_cmp_ge_i32 s12, s14
	s_cbranch_scc1 .LBB0_836
.LBB0_137:                              ; =>This Loop Header: Depth=1
                                        ;     Child Loop BB0_140 Depth 2
                                        ;     Child Loop BB0_148 Depth 2
	;; [unrolled: 1-line block ×9, first 2 shown]
                                        ;       Child Loop BB0_169 Depth 3
                                        ;       Child Loop BB0_176 Depth 3
	;; [unrolled: 1-line block ×11, first 2 shown]
                                        ;     Child Loop BB0_273 Depth 2
                                        ;     Child Loop BB0_281 Depth 2
	;; [unrolled: 1-line block ×13, first 2 shown]
                                        ;       Child Loop BB0_328 Depth 3
                                        ;       Child Loop BB0_335 Depth 3
	;; [unrolled: 1-line block ×11, first 2 shown]
                                        ;     Child Loop BB0_431 Depth 2
                                        ;     Child Loop BB0_516 Depth 2
	;; [unrolled: 1-line block ×6, first 2 shown]
                                        ;       Child Loop BB0_439 Depth 3
                                        ;       Child Loop BB0_446 Depth 3
	;; [unrolled: 1-line block ×11, first 2 shown]
                                        ;     Child Loop BB0_543 Depth 2
                                        ;     Child Loop BB0_551 Depth 2
	;; [unrolled: 1-line block ×13, first 2 shown]
                                        ;       Child Loop BB0_598 Depth 3
                                        ;       Child Loop BB0_605 Depth 3
	;; [unrolled: 1-line block ×11, first 2 shown]
                                        ;     Child Loop BB0_701 Depth 2
                                        ;     Child Loop BB0_786 Depth 2
	;; [unrolled: 1-line block ×6, first 2 shown]
                                        ;       Child Loop BB0_709 Depth 3
                                        ;       Child Loop BB0_716 Depth 3
	;; [unrolled: 1-line block ×11, first 2 shown]
                                        ;     Child Loop BB0_813 Depth 2
                                        ;     Child Loop BB0_821 Depth 2
	;; [unrolled: 1-line block ×4, first 2 shown]
	v_mov_b32_e32 v1, s12
	v_readfirstlane_b32 s0, v46
	v_mov_b64_e32 v[8:9], 0
	s_clause 0x1
	global_load_b32 v2, v1, s[4:5] scale_offset
	global_load_b32 v7, v1, s[6:7] scale_offset
	v_cmp_eq_u32_e64 s0, s0, v46
	s_wait_loadcnt 0x1
	v_readfirstlane_b32 s44, v2
	s_wait_loadcnt 0x0
	v_readfirstlane_b32 s43, v7
	s_wait_xcnt 0x0
	s_and_saveexec_b32 s1, s0
	s_cbranch_execz .LBB0_143
; %bb.138:                              ;   in Loop: Header=BB0_137 Depth=1
	global_load_b64 v[20:21], v3, s[16:17] offset:24 scope:SCOPE_SYS
	s_wait_loadcnt 0x0
	global_inv scope:SCOPE_SYS
	s_clause 0x1
	global_load_b64 v[8:9], v3, s[16:17] offset:40
	global_load_b64 v[18:19], v3, s[16:17]
	s_mov_b32 s30, exec_lo
	s_wait_loadcnt 0x1
	v_and_b32_e32 v8, v8, v20
	v_and_b32_e32 v9, v9, v21
	s_delay_alu instid0(VALU_DEP_1) | instskip(SKIP_1) | instid1(VALU_DEP_1)
	v_mul_u64_e32 v[8:9], 24, v[8:9]
	s_wait_loadcnt 0x0
	v_add_nc_u64_e32 v[8:9], v[18:19], v[8:9]
	global_load_b64 v[18:19], v[8:9], off scope:SCOPE_SYS
	s_wait_xcnt 0x0
	s_wait_loadcnt 0x0
	global_atomic_cmpswap_b64 v[8:9], v3, v[18:21], s[16:17] offset:24 th:TH_ATOMIC_RETURN scope:SCOPE_SYS
	s_wait_loadcnt 0x0
	global_inv scope:SCOPE_SYS
	s_wait_xcnt 0x0
	v_cmpx_ne_u64_e64 v[8:9], v[20:21]
	s_cbranch_execz .LBB0_142
; %bb.139:                              ;   in Loop: Header=BB0_137 Depth=1
	s_mov_b32 s31, 0
.LBB0_140:                              ;   Parent Loop BB0_137 Depth=1
                                        ; =>  This Inner Loop Header: Depth=2
	s_sleep 1
	s_clause 0x1
	global_load_b64 v[18:19], v3, s[16:17] offset:40
	global_load_b64 v[22:23], v3, s[16:17]
	v_mov_b64_e32 v[20:21], v[8:9]
	s_wait_loadcnt 0x1
	s_delay_alu instid0(VALU_DEP_1) | instskip(SKIP_1) | instid1(VALU_DEP_1)
	v_and_b32_e32 v1, v18, v20
	s_wait_loadcnt 0x0
	v_mad_nc_u64_u32 v[8:9], v1, 24, v[22:23]
	s_delay_alu instid0(VALU_DEP_3) | instskip(NEXT) | instid1(VALU_DEP_1)
	v_and_b32_e32 v1, v19, v21
	v_mad_u32 v9, v1, 24, v9
	global_load_b64 v[18:19], v[8:9], off scope:SCOPE_SYS
	s_wait_xcnt 0x0
	s_wait_loadcnt 0x0
	global_atomic_cmpswap_b64 v[8:9], v3, v[18:21], s[16:17] offset:24 th:TH_ATOMIC_RETURN scope:SCOPE_SYS
	s_wait_loadcnt 0x0
	global_inv scope:SCOPE_SYS
	v_cmp_eq_u64_e32 vcc_lo, v[8:9], v[20:21]
	s_or_b32 s31, vcc_lo, s31
	s_wait_xcnt 0x0
	s_and_not1_b32 exec_lo, exec_lo, s31
	s_cbranch_execnz .LBB0_140
; %bb.141:                              ;   in Loop: Header=BB0_137 Depth=1
	s_or_b32 exec_lo, exec_lo, s31
.LBB0_142:                              ;   in Loop: Header=BB0_137 Depth=1
	s_delay_alu instid0(SALU_CYCLE_1)
	s_or_b32 exec_lo, exec_lo, s30
.LBB0_143:                              ;   in Loop: Header=BB0_137 Depth=1
	s_delay_alu instid0(SALU_CYCLE_1)
	s_or_b32 exec_lo, exec_lo, s1
	s_clause 0x1
	global_load_b64 v[22:23], v3, s[16:17] offset:40
	global_load_b128 v[18:21], v3, s[16:17]
	v_readfirstlane_b32 s30, v8
	v_readfirstlane_b32 s31, v9
	s_mov_b32 s1, exec_lo
	s_wait_loadcnt 0x1
	v_and_b32_e32 v22, s30, v22
	v_and_b32_e32 v23, s31, v23
	s_delay_alu instid0(VALU_DEP_1) | instskip(SKIP_1) | instid1(VALU_DEP_1)
	v_mul_u64_e32 v[8:9], 24, v[22:23]
	s_wait_loadcnt 0x0
	v_add_nc_u64_e32 v[8:9], v[18:19], v[8:9]
	s_wait_xcnt 0x0
	s_and_saveexec_b32 s34, s0
	s_cbranch_execz .LBB0_145
; %bb.144:                              ;   in Loop: Header=BB0_137 Depth=1
	v_mov_b32_e32 v2, s1
	global_store_b128 v[8:9], v[2:5], off offset:8
.LBB0_145:                              ;   in Loop: Header=BB0_137 Depth=1
	s_wait_xcnt 0x0
	s_or_b32 exec_lo, exec_lo, s34
	v_lshlrev_b64_e32 v[22:23], 12, v[22:23]
	s_delay_alu instid0(VALU_DEP_1) | instskip(NEXT) | instid1(VALU_DEP_1)
	v_add_nc_u64_e32 v[22:23], v[20:21], v[22:23]
	v_readfirstlane_b32 s34, v22
	s_delay_alu instid0(VALU_DEP_2)
	v_readfirstlane_b32 s35, v23
	s_clause 0x3
	global_store_b128 v0, v[10:13], s[34:35]
	global_store_b128 v0, v[14:17], s[34:35] offset:16
	global_store_b128 v0, v[14:17], s[34:35] offset:32
	;; [unrolled: 1-line block ×3, first 2 shown]
	s_wait_xcnt 0x0
	s_and_saveexec_b32 s1, s0
	s_cbranch_execz .LBB0_153
; %bb.146:                              ;   in Loop: Header=BB0_137 Depth=1
	s_clause 0x1
	global_load_b64 v[28:29], v3, s[16:17] offset:32 scope:SCOPE_SYS
	global_load_b64 v[20:21], v3, s[16:17] offset:40
	s_mov_b32 s34, exec_lo
	v_dual_mov_b32 v26, s30 :: v_dual_mov_b32 v27, s31
	s_wait_loadcnt 0x0
	v_and_b32_e32 v21, s31, v21
	v_and_b32_e32 v20, s30, v20
	s_delay_alu instid0(VALU_DEP_1) | instskip(NEXT) | instid1(VALU_DEP_1)
	v_mul_u64_e32 v[20:21], 24, v[20:21]
	v_add_nc_u64_e32 v[24:25], v[18:19], v[20:21]
	global_store_b64 v[24:25], v[28:29], off
	global_wb scope:SCOPE_SYS
	s_wait_storecnt 0x0
	s_wait_xcnt 0x0
	global_atomic_cmpswap_b64 v[20:21], v3, v[26:29], s[16:17] offset:32 th:TH_ATOMIC_RETURN scope:SCOPE_SYS
	s_wait_loadcnt 0x0
	s_wait_xcnt 0x0
	v_cmpx_ne_u64_e64 v[20:21], v[28:29]
	s_cbranch_execz .LBB0_149
; %bb.147:                              ;   in Loop: Header=BB0_137 Depth=1
	s_mov_b32 s35, 0
.LBB0_148:                              ;   Parent Loop BB0_137 Depth=1
                                        ; =>  This Inner Loop Header: Depth=2
	v_dual_mov_b32 v18, s30 :: v_dual_mov_b32 v19, s31
	s_sleep 1
	global_store_b64 v[24:25], v[20:21], off
	global_wb scope:SCOPE_SYS
	s_wait_storecnt 0x0
	s_wait_xcnt 0x0
	global_atomic_cmpswap_b64 v[18:19], v3, v[18:21], s[16:17] offset:32 th:TH_ATOMIC_RETURN scope:SCOPE_SYS
	s_wait_loadcnt 0x0
	v_cmp_eq_u64_e32 vcc_lo, v[18:19], v[20:21]
	s_wait_xcnt 0x0
	v_mov_b64_e32 v[20:21], v[18:19]
	s_or_b32 s35, vcc_lo, s35
	s_delay_alu instid0(SALU_CYCLE_1)
	s_and_not1_b32 exec_lo, exec_lo, s35
	s_cbranch_execnz .LBB0_148
.LBB0_149:                              ;   in Loop: Header=BB0_137 Depth=1
	s_or_b32 exec_lo, exec_lo, s34
	global_load_b64 v[18:19], v3, s[16:17] offset:16
	s_mov_b32 s35, exec_lo
	s_mov_b32 s34, exec_lo
	v_mbcnt_lo_u32_b32 v1, s35, 0
	s_wait_xcnt 0x0
	s_delay_alu instid0(VALU_DEP_1)
	v_cmpx_eq_u32_e32 0, v1
	s_cbranch_execz .LBB0_151
; %bb.150:                              ;   in Loop: Header=BB0_137 Depth=1
	s_bcnt1_i32_b32 s35, s35
	s_delay_alu instid0(SALU_CYCLE_1)
	v_mov_b32_e32 v2, s35
	global_wb scope:SCOPE_SYS
	s_wait_loadcnt 0x0
	s_wait_storecnt 0x0
	global_atomic_add_u64 v[18:19], v[2:3], off offset:8 scope:SCOPE_SYS
.LBB0_151:                              ;   in Loop: Header=BB0_137 Depth=1
	s_wait_xcnt 0x0
	s_or_b32 exec_lo, exec_lo, s34
	s_wait_loadcnt 0x0
	global_load_b64 v[20:21], v[18:19], off offset:16
	s_wait_loadcnt 0x0
	v_cmp_eq_u64_e32 vcc_lo, 0, v[20:21]
	s_cbranch_vccnz .LBB0_153
; %bb.152:                              ;   in Loop: Header=BB0_137 Depth=1
	global_load_b32 v2, v[18:19], off offset:24
	s_wait_loadcnt 0x0
	v_readfirstlane_b32 s34, v2
	global_wb scope:SCOPE_SYS
	s_wait_storecnt 0x0
	s_wait_xcnt 0x0
	global_store_b64 v[20:21], v[2:3], off scope:SCOPE_SYS
	s_and_b32 m0, s34, 0xffffff
	s_sendmsg sendmsg(MSG_INTERRUPT)
.LBB0_153:                              ;   in Loop: Header=BB0_137 Depth=1
	s_wait_xcnt 0x0
	s_or_b32 exec_lo, exec_lo, s1
	v_add_nc_u64_e32 v[18:19], v[22:23], v[40:41]
	s_branch .LBB0_157
.LBB0_154:                              ;   in Loop: Header=BB0_157 Depth=2
	s_wait_xcnt 0x0
	s_or_b32 exec_lo, exec_lo, s1
	s_delay_alu instid0(VALU_DEP_1)
	v_readfirstlane_b32 s1, v1
	s_cmp_eq_u32 s1, 0
	s_cbranch_scc1 .LBB0_156
; %bb.155:                              ;   in Loop: Header=BB0_157 Depth=2
	s_sleep 1
	s_cbranch_execnz .LBB0_157
	s_branch .LBB0_159
.LBB0_156:                              ;   in Loop: Header=BB0_137 Depth=1
	s_branch .LBB0_159
.LBB0_157:                              ;   Parent Loop BB0_137 Depth=1
                                        ; =>  This Inner Loop Header: Depth=2
	v_mov_b32_e32 v1, 1
	s_and_saveexec_b32 s1, s0
	s_cbranch_execz .LBB0_154
; %bb.158:                              ;   in Loop: Header=BB0_157 Depth=2
	global_load_b32 v1, v[8:9], off offset:20 scope:SCOPE_SYS
	s_wait_loadcnt 0x0
	global_inv scope:SCOPE_SYS
	v_and_b32_e32 v1, 1, v1
	s_branch .LBB0_154
.LBB0_159:                              ;   in Loop: Header=BB0_137 Depth=1
	global_load_b64 v[18:19], v[18:19], off
	s_wait_xcnt 0x0
	s_and_saveexec_b32 s34, s0
	s_cbranch_execz .LBB0_163
; %bb.160:                              ;   in Loop: Header=BB0_137 Depth=1
	s_clause 0x2
	global_load_b64 v[8:9], v3, s[16:17] offset:40
	global_load_b64 v[24:25], v3, s[16:17] offset:24 scope:SCOPE_SYS
	global_load_b64 v[20:21], v3, s[16:17]
	s_wait_loadcnt 0x2
	v_readfirstlane_b32 s36, v8
	v_readfirstlane_b32 s37, v9
	s_add_nc_u64 s[0:1], s[36:37], 1
	s_delay_alu instid0(SALU_CYCLE_1) | instskip(NEXT) | instid1(SALU_CYCLE_1)
	s_add_nc_u64 s[30:31], s[0:1], s[30:31]
	s_cmp_eq_u64 s[30:31], 0
	s_cselect_b32 s1, s1, s31
	s_cselect_b32 s0, s0, s30
	s_delay_alu instid0(SALU_CYCLE_1) | instskip(SKIP_1) | instid1(SALU_CYCLE_1)
	v_dual_mov_b32 v23, s1 :: v_dual_mov_b32 v22, s0
	s_and_b64 s[30:31], s[0:1], s[36:37]
	s_mul_u64 s[30:31], s[30:31], 24
	s_wait_loadcnt 0x0
	v_add_nc_u64_e32 v[8:9], s[30:31], v[20:21]
	global_store_b64 v[8:9], v[24:25], off
	global_wb scope:SCOPE_SYS
	s_wait_storecnt 0x0
	s_wait_xcnt 0x0
	global_atomic_cmpswap_b64 v[22:23], v3, v[22:25], s[16:17] offset:24 th:TH_ATOMIC_RETURN scope:SCOPE_SYS
	s_wait_loadcnt 0x0
	v_cmp_ne_u64_e32 vcc_lo, v[22:23], v[24:25]
	s_and_b32 exec_lo, exec_lo, vcc_lo
	s_cbranch_execz .LBB0_163
; %bb.161:                              ;   in Loop: Header=BB0_137 Depth=1
	s_mov_b32 s30, 0
.LBB0_162:                              ;   Parent Loop BB0_137 Depth=1
                                        ; =>  This Inner Loop Header: Depth=2
	v_dual_mov_b32 v20, s0 :: v_dual_mov_b32 v21, s1
	s_sleep 1
	global_store_b64 v[8:9], v[22:23], off
	global_wb scope:SCOPE_SYS
	s_wait_storecnt 0x0
	s_wait_xcnt 0x0
	global_atomic_cmpswap_b64 v[20:21], v3, v[20:23], s[16:17] offset:24 th:TH_ATOMIC_RETURN scope:SCOPE_SYS
	s_wait_loadcnt 0x0
	v_cmp_eq_u64_e32 vcc_lo, v[20:21], v[22:23]
	v_mov_b64_e32 v[22:23], v[20:21]
	s_or_b32 s30, vcc_lo, s30
	s_delay_alu instid0(SALU_CYCLE_1)
	s_and_not1_b32 exec_lo, exec_lo, s30
	s_cbranch_execnz .LBB0_162
.LBB0_163:                              ;   in Loop: Header=BB0_137 Depth=1
	s_or_b32 exec_lo, exec_lo, s34
	s_delay_alu instid0(SALU_CYCLE_1)
	s_and_b32 vcc_lo, exec_lo, s15
	s_cbranch_vccz .LBB0_242
; %bb.164:                              ;   in Loop: Header=BB0_137 Depth=1
	s_wait_loadcnt 0x0
	v_dual_mov_b32 v21, v19 :: v_dual_bitop2_b32 v8, 2, v18 bitop3:0x40
	v_and_b32_e32 v20, -3, v18
	s_mov_b64 s[30:31], 4
	s_mov_b64 s[34:35], s[24:25]
	s_branch .LBB0_166
.LBB0_165:                              ;   in Loop: Header=BB0_166 Depth=2
	s_or_b32 exec_lo, exec_lo, s40
	s_sub_nc_u64 s[30:31], s[30:31], s[36:37]
	s_add_nc_u64 s[34:35], s[34:35], s[36:37]
	s_cmp_lg_u64 s[30:31], 0
	s_cbranch_scc0 .LBB0_241
.LBB0_166:                              ;   Parent Loop BB0_137 Depth=1
                                        ; =>  This Loop Header: Depth=2
                                        ;       Child Loop BB0_169 Depth 3
                                        ;       Child Loop BB0_176 Depth 3
	;; [unrolled: 1-line block ×11, first 2 shown]
	v_min_u64 v[22:23], s[30:31], 56
	v_cmp_gt_u64_e64 s0, s[30:31], 7
	s_and_b32 vcc_lo, exec_lo, s0
	v_readfirstlane_b32 s36, v22
	v_readfirstlane_b32 s37, v23
	s_cbranch_vccnz .LBB0_171
; %bb.167:                              ;   in Loop: Header=BB0_166 Depth=2
	v_mov_b64_e32 v[22:23], 0
	s_cmp_eq_u64 s[30:31], 0
	s_cbranch_scc1 .LBB0_170
; %bb.168:                              ;   in Loop: Header=BB0_166 Depth=2
	s_mov_b64 s[0:1], 0
	s_mov_b64 s[38:39], 0
.LBB0_169:                              ;   Parent Loop BB0_137 Depth=1
                                        ;     Parent Loop BB0_166 Depth=2
                                        ; =>    This Inner Loop Header: Depth=3
	s_wait_xcnt 0x0
	s_add_nc_u64 s[40:41], s[34:35], s[38:39]
	s_add_nc_u64 s[38:39], s[38:39], 1
	global_load_u8 v1, v3, s[40:41]
	s_cmp_lg_u32 s36, s38
	s_wait_loadcnt 0x0
	v_and_b32_e32 v2, 0xffff, v1
	s_delay_alu instid0(VALU_DEP_1) | instskip(SKIP_1) | instid1(VALU_DEP_1)
	v_lshlrev_b64_e32 v[24:25], s0, v[2:3]
	s_add_nc_u64 s[0:1], s[0:1], 8
	v_or_b32_e32 v22, v24, v22
	s_delay_alu instid0(VALU_DEP_2)
	v_or_b32_e32 v23, v25, v23
	s_cbranch_scc1 .LBB0_169
.LBB0_170:                              ;   in Loop: Header=BB0_166 Depth=2
	s_mov_b64 s[0:1], s[34:35]
	s_mov_b32 s45, 0
	s_cbranch_execz .LBB0_172
	s_branch .LBB0_173
.LBB0_171:                              ;   in Loop: Header=BB0_166 Depth=2
	s_add_nc_u64 s[0:1], s[34:35], 8
	s_mov_b32 s45, 0
.LBB0_172:                              ;   in Loop: Header=BB0_166 Depth=2
	global_load_b64 v[22:23], v3, s[34:35]
	s_add_co_i32 s45, s36, -8
.LBB0_173:                              ;   in Loop: Header=BB0_166 Depth=2
	s_delay_alu instid0(SALU_CYCLE_1)
	s_cmp_gt_u32 s45, 7
	s_cbranch_scc1 .LBB0_178
; %bb.174:                              ;   in Loop: Header=BB0_166 Depth=2
	v_mov_b64_e32 v[24:25], 0
	s_cmp_eq_u32 s45, 0
	s_cbranch_scc1 .LBB0_177
; %bb.175:                              ;   in Loop: Header=BB0_166 Depth=2
	s_mov_b64 s[38:39], 0
	s_wait_xcnt 0x0
	s_mov_b64 s[40:41], 0
.LBB0_176:                              ;   Parent Loop BB0_137 Depth=1
                                        ;     Parent Loop BB0_166 Depth=2
                                        ; =>    This Inner Loop Header: Depth=3
	s_wait_xcnt 0x0
	s_add_nc_u64 s[46:47], s[0:1], s[40:41]
	s_add_nc_u64 s[40:41], s[40:41], 1
	global_load_u8 v1, v3, s[46:47]
	s_cmp_lg_u32 s45, s40
	s_wait_loadcnt 0x0
	v_and_b32_e32 v2, 0xffff, v1
	s_delay_alu instid0(VALU_DEP_1) | instskip(SKIP_1) | instid1(VALU_DEP_1)
	v_lshlrev_b64_e32 v[26:27], s38, v[2:3]
	s_add_nc_u64 s[38:39], s[38:39], 8
	v_or_b32_e32 v24, v26, v24
	s_delay_alu instid0(VALU_DEP_2)
	v_or_b32_e32 v25, v27, v25
	s_cbranch_scc1 .LBB0_176
.LBB0_177:                              ;   in Loop: Header=BB0_166 Depth=2
	s_wait_xcnt 0x0
	s_mov_b64 s[38:39], s[0:1]
	s_mov_b32 s46, 0
	s_cbranch_execz .LBB0_179
	s_branch .LBB0_180
.LBB0_178:                              ;   in Loop: Header=BB0_166 Depth=2
	s_add_nc_u64 s[38:39], s[0:1], 8
	s_wait_xcnt 0x0
                                        ; implicit-def: $vgpr24_vgpr25
	s_mov_b32 s46, 0
.LBB0_179:                              ;   in Loop: Header=BB0_166 Depth=2
	global_load_b64 v[24:25], v3, s[0:1]
	s_add_co_i32 s46, s45, -8
.LBB0_180:                              ;   in Loop: Header=BB0_166 Depth=2
	s_delay_alu instid0(SALU_CYCLE_1)
	s_cmp_gt_u32 s46, 7
	s_cbranch_scc1 .LBB0_185
; %bb.181:                              ;   in Loop: Header=BB0_166 Depth=2
	v_mov_b64_e32 v[26:27], 0
	s_cmp_eq_u32 s46, 0
	s_cbranch_scc1 .LBB0_184
; %bb.182:                              ;   in Loop: Header=BB0_166 Depth=2
	s_wait_xcnt 0x0
	s_mov_b64 s[0:1], 0
	s_mov_b64 s[40:41], 0
.LBB0_183:                              ;   Parent Loop BB0_137 Depth=1
                                        ;     Parent Loop BB0_166 Depth=2
                                        ; =>    This Inner Loop Header: Depth=3
	s_wait_xcnt 0x0
	s_add_nc_u64 s[48:49], s[38:39], s[40:41]
	s_add_nc_u64 s[40:41], s[40:41], 1
	global_load_u8 v1, v3, s[48:49]
	s_cmp_lg_u32 s46, s40
	s_wait_loadcnt 0x0
	v_and_b32_e32 v2, 0xffff, v1
	s_delay_alu instid0(VALU_DEP_1) | instskip(SKIP_1) | instid1(VALU_DEP_1)
	v_lshlrev_b64_e32 v[28:29], s0, v[2:3]
	s_add_nc_u64 s[0:1], s[0:1], 8
	v_or_b32_e32 v26, v28, v26
	s_delay_alu instid0(VALU_DEP_2)
	v_or_b32_e32 v27, v29, v27
	s_cbranch_scc1 .LBB0_183
.LBB0_184:                              ;   in Loop: Header=BB0_166 Depth=2
	s_wait_xcnt 0x0
	s_mov_b64 s[0:1], s[38:39]
	s_mov_b32 s45, 0
	s_cbranch_execz .LBB0_186
	s_branch .LBB0_187
.LBB0_185:                              ;   in Loop: Header=BB0_166 Depth=2
	s_wait_xcnt 0x0
	s_add_nc_u64 s[0:1], s[38:39], 8
	s_mov_b32 s45, 0
.LBB0_186:                              ;   in Loop: Header=BB0_166 Depth=2
	global_load_b64 v[26:27], v3, s[38:39]
	s_add_co_i32 s45, s46, -8
.LBB0_187:                              ;   in Loop: Header=BB0_166 Depth=2
	s_delay_alu instid0(SALU_CYCLE_1)
	s_cmp_gt_u32 s45, 7
	s_cbranch_scc1 .LBB0_192
; %bb.188:                              ;   in Loop: Header=BB0_166 Depth=2
	v_mov_b64_e32 v[28:29], 0
	s_cmp_eq_u32 s45, 0
	s_cbranch_scc1 .LBB0_191
; %bb.189:                              ;   in Loop: Header=BB0_166 Depth=2
	s_wait_xcnt 0x0
	s_mov_b64 s[38:39], 0
	s_mov_b64 s[40:41], 0
.LBB0_190:                              ;   Parent Loop BB0_137 Depth=1
                                        ;     Parent Loop BB0_166 Depth=2
                                        ; =>    This Inner Loop Header: Depth=3
	s_wait_xcnt 0x0
	s_add_nc_u64 s[46:47], s[0:1], s[40:41]
	s_add_nc_u64 s[40:41], s[40:41], 1
	global_load_u8 v1, v3, s[46:47]
	s_cmp_lg_u32 s45, s40
	s_wait_loadcnt 0x0
	v_and_b32_e32 v2, 0xffff, v1
	s_delay_alu instid0(VALU_DEP_1) | instskip(SKIP_1) | instid1(VALU_DEP_1)
	v_lshlrev_b64_e32 v[30:31], s38, v[2:3]
	s_add_nc_u64 s[38:39], s[38:39], 8
	v_or_b32_e32 v28, v30, v28
	s_delay_alu instid0(VALU_DEP_2)
	v_or_b32_e32 v29, v31, v29
	s_cbranch_scc1 .LBB0_190
.LBB0_191:                              ;   in Loop: Header=BB0_166 Depth=2
	s_wait_xcnt 0x0
	s_mov_b64 s[38:39], s[0:1]
	s_mov_b32 s46, 0
	s_cbranch_execz .LBB0_193
	s_branch .LBB0_194
.LBB0_192:                              ;   in Loop: Header=BB0_166 Depth=2
	s_wait_xcnt 0x0
	s_add_nc_u64 s[38:39], s[0:1], 8
                                        ; implicit-def: $vgpr28_vgpr29
	s_mov_b32 s46, 0
.LBB0_193:                              ;   in Loop: Header=BB0_166 Depth=2
	global_load_b64 v[28:29], v3, s[0:1]
	s_add_co_i32 s46, s45, -8
.LBB0_194:                              ;   in Loop: Header=BB0_166 Depth=2
	s_delay_alu instid0(SALU_CYCLE_1)
	s_cmp_gt_u32 s46, 7
	s_cbranch_scc1 .LBB0_199
; %bb.195:                              ;   in Loop: Header=BB0_166 Depth=2
	v_mov_b64_e32 v[30:31], 0
	s_cmp_eq_u32 s46, 0
	s_cbranch_scc1 .LBB0_198
; %bb.196:                              ;   in Loop: Header=BB0_166 Depth=2
	s_wait_xcnt 0x0
	s_mov_b64 s[0:1], 0
	s_mov_b64 s[40:41], 0
.LBB0_197:                              ;   Parent Loop BB0_137 Depth=1
                                        ;     Parent Loop BB0_166 Depth=2
                                        ; =>    This Inner Loop Header: Depth=3
	s_wait_xcnt 0x0
	s_add_nc_u64 s[48:49], s[38:39], s[40:41]
	s_add_nc_u64 s[40:41], s[40:41], 1
	global_load_u8 v1, v3, s[48:49]
	s_cmp_lg_u32 s46, s40
	s_wait_loadcnt 0x0
	v_and_b32_e32 v2, 0xffff, v1
	s_delay_alu instid0(VALU_DEP_1) | instskip(SKIP_1) | instid1(VALU_DEP_1)
	v_lshlrev_b64_e32 v[32:33], s0, v[2:3]
	s_add_nc_u64 s[0:1], s[0:1], 8
	v_or_b32_e32 v30, v32, v30
	s_delay_alu instid0(VALU_DEP_2)
	v_or_b32_e32 v31, v33, v31
	s_cbranch_scc1 .LBB0_197
.LBB0_198:                              ;   in Loop: Header=BB0_166 Depth=2
	s_wait_xcnt 0x0
	s_mov_b64 s[0:1], s[38:39]
	s_mov_b32 s45, 0
	s_cbranch_execz .LBB0_200
	s_branch .LBB0_201
.LBB0_199:                              ;   in Loop: Header=BB0_166 Depth=2
	s_wait_xcnt 0x0
	s_add_nc_u64 s[0:1], s[38:39], 8
	s_mov_b32 s45, 0
.LBB0_200:                              ;   in Loop: Header=BB0_166 Depth=2
	global_load_b64 v[30:31], v3, s[38:39]
	s_add_co_i32 s45, s46, -8
.LBB0_201:                              ;   in Loop: Header=BB0_166 Depth=2
	s_delay_alu instid0(SALU_CYCLE_1)
	s_cmp_gt_u32 s45, 7
	s_cbranch_scc1 .LBB0_206
; %bb.202:                              ;   in Loop: Header=BB0_166 Depth=2
	v_mov_b64_e32 v[32:33], 0
	s_cmp_eq_u32 s45, 0
	s_cbranch_scc1 .LBB0_205
; %bb.203:                              ;   in Loop: Header=BB0_166 Depth=2
	s_wait_xcnt 0x0
	s_mov_b64 s[38:39], 0
	s_mov_b64 s[40:41], 0
.LBB0_204:                              ;   Parent Loop BB0_137 Depth=1
                                        ;     Parent Loop BB0_166 Depth=2
                                        ; =>    This Inner Loop Header: Depth=3
	s_wait_xcnt 0x0
	s_add_nc_u64 s[46:47], s[0:1], s[40:41]
	s_add_nc_u64 s[40:41], s[40:41], 1
	global_load_u8 v1, v3, s[46:47]
	s_cmp_lg_u32 s45, s40
	s_wait_loadcnt 0x0
	v_and_b32_e32 v2, 0xffff, v1
	s_delay_alu instid0(VALU_DEP_1) | instskip(SKIP_1) | instid1(VALU_DEP_1)
	v_lshlrev_b64_e32 v[34:35], s38, v[2:3]
	s_add_nc_u64 s[38:39], s[38:39], 8
	v_or_b32_e32 v32, v34, v32
	s_delay_alu instid0(VALU_DEP_2)
	v_or_b32_e32 v33, v35, v33
	s_cbranch_scc1 .LBB0_204
.LBB0_205:                              ;   in Loop: Header=BB0_166 Depth=2
	s_wait_xcnt 0x0
	s_mov_b64 s[38:39], s[0:1]
	s_mov_b32 s46, 0
	s_cbranch_execz .LBB0_207
	s_branch .LBB0_208
.LBB0_206:                              ;   in Loop: Header=BB0_166 Depth=2
	s_wait_xcnt 0x0
	s_add_nc_u64 s[38:39], s[0:1], 8
                                        ; implicit-def: $vgpr32_vgpr33
	s_mov_b32 s46, 0
.LBB0_207:                              ;   in Loop: Header=BB0_166 Depth=2
	global_load_b64 v[32:33], v3, s[0:1]
	s_add_co_i32 s46, s45, -8
.LBB0_208:                              ;   in Loop: Header=BB0_166 Depth=2
	s_delay_alu instid0(SALU_CYCLE_1)
	s_cmp_gt_u32 s46, 7
	s_cbranch_scc1 .LBB0_213
; %bb.209:                              ;   in Loop: Header=BB0_166 Depth=2
	v_mov_b64_e32 v[34:35], 0
	s_cmp_eq_u32 s46, 0
	s_cbranch_scc1 .LBB0_212
; %bb.210:                              ;   in Loop: Header=BB0_166 Depth=2
	s_wait_xcnt 0x0
	s_mov_b64 s[0:1], 0
	s_mov_b64 s[40:41], s[38:39]
.LBB0_211:                              ;   Parent Loop BB0_137 Depth=1
                                        ;     Parent Loop BB0_166 Depth=2
                                        ; =>    This Inner Loop Header: Depth=3
	global_load_u8 v1, v3, s[40:41]
	s_add_co_i32 s46, s46, -1
	s_wait_xcnt 0x0
	s_add_nc_u64 s[40:41], s[40:41], 1
	s_cmp_lg_u32 s46, 0
	s_wait_loadcnt 0x0
	v_and_b32_e32 v2, 0xffff, v1
	s_delay_alu instid0(VALU_DEP_1) | instskip(SKIP_1) | instid1(VALU_DEP_1)
	v_lshlrev_b64_e32 v[36:37], s0, v[2:3]
	s_add_nc_u64 s[0:1], s[0:1], 8
	v_or_b32_e32 v34, v36, v34
	s_delay_alu instid0(VALU_DEP_2)
	v_or_b32_e32 v35, v37, v35
	s_cbranch_scc1 .LBB0_211
.LBB0_212:                              ;   in Loop: Header=BB0_166 Depth=2
	s_wait_xcnt 0x0
	s_cbranch_execz .LBB0_214
	s_branch .LBB0_215
.LBB0_213:                              ;   in Loop: Header=BB0_166 Depth=2
	s_wait_xcnt 0x0
.LBB0_214:                              ;   in Loop: Header=BB0_166 Depth=2
	global_load_b64 v[34:35], v3, s[38:39]
.LBB0_215:                              ;   in Loop: Header=BB0_166 Depth=2
	v_readfirstlane_b32 s0, v46
	v_mov_b64_e32 v[42:43], 0
	s_delay_alu instid0(VALU_DEP_2)
	v_cmp_eq_u32_e64 s0, s0, v46
	s_wait_xcnt 0x0
	s_and_saveexec_b32 s1, s0
	s_cbranch_execz .LBB0_221
; %bb.216:                              ;   in Loop: Header=BB0_166 Depth=2
	global_load_b64 v[38:39], v3, s[16:17] offset:24 scope:SCOPE_SYS
	s_wait_loadcnt 0x0
	global_inv scope:SCOPE_SYS
	s_clause 0x1
	global_load_b64 v[36:37], v3, s[16:17] offset:40
	global_load_b64 v[42:43], v3, s[16:17]
	s_mov_b32 s38, exec_lo
	s_wait_loadcnt 0x1
	v_and_b32_e32 v36, v36, v38
	v_and_b32_e32 v37, v37, v39
	s_delay_alu instid0(VALU_DEP_1) | instskip(SKIP_1) | instid1(VALU_DEP_1)
	v_mul_u64_e32 v[36:37], 24, v[36:37]
	s_wait_loadcnt 0x0
	v_add_nc_u64_e32 v[36:37], v[42:43], v[36:37]
	global_load_b64 v[36:37], v[36:37], off scope:SCOPE_SYS
	s_wait_xcnt 0x0
	s_wait_loadcnt 0x0
	global_atomic_cmpswap_b64 v[42:43], v3, v[36:39], s[16:17] offset:24 th:TH_ATOMIC_RETURN scope:SCOPE_SYS
	s_wait_loadcnt 0x0
	global_inv scope:SCOPE_SYS
	s_wait_xcnt 0x0
	v_cmpx_ne_u64_e64 v[42:43], v[38:39]
	s_cbranch_execz .LBB0_220
; %bb.217:                              ;   in Loop: Header=BB0_166 Depth=2
	s_mov_b32 s39, 0
.LBB0_218:                              ;   Parent Loop BB0_137 Depth=1
                                        ;     Parent Loop BB0_166 Depth=2
                                        ; =>    This Inner Loop Header: Depth=3
	s_sleep 1
	s_clause 0x1
	global_load_b64 v[36:37], v3, s[16:17] offset:40
	global_load_b64 v[44:45], v3, s[16:17]
	v_mov_b64_e32 v[38:39], v[42:43]
	s_wait_loadcnt 0x1
	s_delay_alu instid0(VALU_DEP_1) | instskip(SKIP_1) | instid1(VALU_DEP_1)
	v_and_b32_e32 v1, v36, v38
	s_wait_loadcnt 0x0
	v_mad_nc_u64_u32 v[42:43], v1, 24, v[44:45]
	s_delay_alu instid0(VALU_DEP_3) | instskip(NEXT) | instid1(VALU_DEP_1)
	v_and_b32_e32 v1, v37, v39
	v_mad_u32 v43, v1, 24, v43
	global_load_b64 v[36:37], v[42:43], off scope:SCOPE_SYS
	s_wait_xcnt 0x0
	s_wait_loadcnt 0x0
	global_atomic_cmpswap_b64 v[42:43], v3, v[36:39], s[16:17] offset:24 th:TH_ATOMIC_RETURN scope:SCOPE_SYS
	s_wait_loadcnt 0x0
	global_inv scope:SCOPE_SYS
	v_cmp_eq_u64_e32 vcc_lo, v[42:43], v[38:39]
	s_or_b32 s39, vcc_lo, s39
	s_wait_xcnt 0x0
	s_and_not1_b32 exec_lo, exec_lo, s39
	s_cbranch_execnz .LBB0_218
; %bb.219:                              ;   in Loop: Header=BB0_166 Depth=2
	s_or_b32 exec_lo, exec_lo, s39
.LBB0_220:                              ;   in Loop: Header=BB0_166 Depth=2
	s_delay_alu instid0(SALU_CYCLE_1)
	s_or_b32 exec_lo, exec_lo, s38
.LBB0_221:                              ;   in Loop: Header=BB0_166 Depth=2
	s_delay_alu instid0(SALU_CYCLE_1)
	s_or_b32 exec_lo, exec_lo, s1
	s_clause 0x1
	global_load_b64 v[44:45], v3, s[16:17] offset:40
	global_load_b128 v[36:39], v3, s[16:17]
	v_readfirstlane_b32 s38, v42
	v_readfirstlane_b32 s39, v43
	s_mov_b32 s1, exec_lo
	s_wait_loadcnt 0x1
	v_and_b32_e32 v44, s38, v44
	v_and_b32_e32 v45, s39, v45
	s_delay_alu instid0(VALU_DEP_1) | instskip(SKIP_1) | instid1(VALU_DEP_1)
	v_mul_u64_e32 v[42:43], 24, v[44:45]
	s_wait_loadcnt 0x0
	v_add_nc_u64_e32 v[42:43], v[36:37], v[42:43]
	s_wait_xcnt 0x0
	s_and_saveexec_b32 s40, s0
	s_cbranch_execz .LBB0_223
; %bb.222:                              ;   in Loop: Header=BB0_166 Depth=2
	v_mov_b32_e32 v2, s1
	global_store_b128 v[42:43], v[2:5], off offset:8
.LBB0_223:                              ;   in Loop: Header=BB0_166 Depth=2
	s_wait_xcnt 0x0
	s_or_b32 exec_lo, exec_lo, s40
	v_cmp_lt_u64_e64 vcc_lo, s[30:31], 57
	v_lshlrev_b64_e32 v[44:45], 12, v[44:45]
	v_and_b32_e32 v2, 0xffffff1f, v20
	s_lshl_b32 s1, s36, 2
	s_delay_alu instid0(SALU_CYCLE_1) | instskip(SKIP_1) | instid1(VALU_DEP_3)
	s_add_co_i32 s1, s1, 28
	v_cndmask_b32_e32 v1, 0, v8, vcc_lo
	v_add_nc_u64_e32 v[38:39], v[38:39], v[44:45]
	s_delay_alu instid0(VALU_DEP_2) | instskip(NEXT) | instid1(VALU_DEP_2)
	v_or_b32_e32 v1, v2, v1
	v_readfirstlane_b32 s40, v38
	s_delay_alu instid0(VALU_DEP_3) | instskip(NEXT) | instid1(VALU_DEP_3)
	v_readfirstlane_b32 s41, v39
	v_and_or_b32 v20, 0x1e0, s1, v1
	s_clause 0x3
	global_store_b128 v0, v[20:23], s[40:41]
	global_store_b128 v0, v[24:27], s[40:41] offset:16
	global_store_b128 v0, v[28:31], s[40:41] offset:32
	;; [unrolled: 1-line block ×3, first 2 shown]
	s_wait_xcnt 0x0
	s_and_saveexec_b32 s1, s0
	s_cbranch_execz .LBB0_231
; %bb.224:                              ;   in Loop: Header=BB0_166 Depth=2
	s_clause 0x1
	global_load_b64 v[28:29], v3, s[16:17] offset:32 scope:SCOPE_SYS
	global_load_b64 v[20:21], v3, s[16:17] offset:40
	s_mov_b32 s40, exec_lo
	v_dual_mov_b32 v26, s38 :: v_dual_mov_b32 v27, s39
	s_wait_loadcnt 0x0
	v_and_b32_e32 v21, s39, v21
	v_and_b32_e32 v20, s38, v20
	s_delay_alu instid0(VALU_DEP_1) | instskip(NEXT) | instid1(VALU_DEP_1)
	v_mul_u64_e32 v[20:21], 24, v[20:21]
	v_add_nc_u64_e32 v[24:25], v[36:37], v[20:21]
	global_store_b64 v[24:25], v[28:29], off
	global_wb scope:SCOPE_SYS
	s_wait_storecnt 0x0
	s_wait_xcnt 0x0
	global_atomic_cmpswap_b64 v[22:23], v3, v[26:29], s[16:17] offset:32 th:TH_ATOMIC_RETURN scope:SCOPE_SYS
	s_wait_loadcnt 0x0
	v_cmpx_ne_u64_e64 v[22:23], v[28:29]
	s_cbranch_execz .LBB0_227
; %bb.225:                              ;   in Loop: Header=BB0_166 Depth=2
	s_mov_b32 s41, 0
.LBB0_226:                              ;   Parent Loop BB0_137 Depth=1
                                        ;     Parent Loop BB0_166 Depth=2
                                        ; =>    This Inner Loop Header: Depth=3
	v_dual_mov_b32 v20, s38 :: v_dual_mov_b32 v21, s39
	s_sleep 1
	global_store_b64 v[24:25], v[22:23], off
	global_wb scope:SCOPE_SYS
	s_wait_storecnt 0x0
	s_wait_xcnt 0x0
	global_atomic_cmpswap_b64 v[20:21], v3, v[20:23], s[16:17] offset:32 th:TH_ATOMIC_RETURN scope:SCOPE_SYS
	s_wait_loadcnt 0x0
	v_cmp_eq_u64_e32 vcc_lo, v[20:21], v[22:23]
	v_mov_b64_e32 v[22:23], v[20:21]
	s_or_b32 s41, vcc_lo, s41
	s_delay_alu instid0(SALU_CYCLE_1)
	s_and_not1_b32 exec_lo, exec_lo, s41
	s_cbranch_execnz .LBB0_226
.LBB0_227:                              ;   in Loop: Header=BB0_166 Depth=2
	s_or_b32 exec_lo, exec_lo, s40
	global_load_b64 v[20:21], v3, s[16:17] offset:16
	s_mov_b32 s41, exec_lo
	s_mov_b32 s40, exec_lo
	v_mbcnt_lo_u32_b32 v1, s41, 0
	s_wait_xcnt 0x0
	s_delay_alu instid0(VALU_DEP_1)
	v_cmpx_eq_u32_e32 0, v1
	s_cbranch_execz .LBB0_229
; %bb.228:                              ;   in Loop: Header=BB0_166 Depth=2
	s_bcnt1_i32_b32 s41, s41
	s_delay_alu instid0(SALU_CYCLE_1)
	v_mov_b32_e32 v2, s41
	global_wb scope:SCOPE_SYS
	s_wait_loadcnt 0x0
	s_wait_storecnt 0x0
	global_atomic_add_u64 v[20:21], v[2:3], off offset:8 scope:SCOPE_SYS
.LBB0_229:                              ;   in Loop: Header=BB0_166 Depth=2
	s_wait_xcnt 0x0
	s_or_b32 exec_lo, exec_lo, s40
	s_wait_loadcnt 0x0
	global_load_b64 v[22:23], v[20:21], off offset:16
	s_wait_loadcnt 0x0
	v_cmp_eq_u64_e32 vcc_lo, 0, v[22:23]
	s_cbranch_vccnz .LBB0_231
; %bb.230:                              ;   in Loop: Header=BB0_166 Depth=2
	global_load_b32 v2, v[20:21], off offset:24
	s_wait_loadcnt 0x0
	v_readfirstlane_b32 s40, v2
	global_wb scope:SCOPE_SYS
	s_wait_storecnt 0x0
	s_wait_xcnt 0x0
	global_store_b64 v[22:23], v[2:3], off scope:SCOPE_SYS
	s_and_b32 m0, s40, 0xffffff
	s_sendmsg sendmsg(MSG_INTERRUPT)
.LBB0_231:                              ;   in Loop: Header=BB0_166 Depth=2
	s_wait_xcnt 0x0
	s_or_b32 exec_lo, exec_lo, s1
	v_mov_b32_e32 v1, v3
	s_delay_alu instid0(VALU_DEP_1)
	v_add_nc_u64_e32 v[20:21], v[38:39], v[0:1]
	s_branch .LBB0_235
.LBB0_232:                              ;   in Loop: Header=BB0_235 Depth=3
	s_wait_xcnt 0x0
	s_or_b32 exec_lo, exec_lo, s1
	s_delay_alu instid0(VALU_DEP_1)
	v_readfirstlane_b32 s1, v1
	s_cmp_eq_u32 s1, 0
	s_cbranch_scc1 .LBB0_234
; %bb.233:                              ;   in Loop: Header=BB0_235 Depth=3
	s_sleep 1
	s_cbranch_execnz .LBB0_235
	s_branch .LBB0_237
.LBB0_234:                              ;   in Loop: Header=BB0_166 Depth=2
	s_branch .LBB0_237
.LBB0_235:                              ;   Parent Loop BB0_137 Depth=1
                                        ;     Parent Loop BB0_166 Depth=2
                                        ; =>    This Inner Loop Header: Depth=3
	v_mov_b32_e32 v1, 1
	s_and_saveexec_b32 s1, s0
	s_cbranch_execz .LBB0_232
; %bb.236:                              ;   in Loop: Header=BB0_235 Depth=3
	global_load_b32 v1, v[42:43], off offset:20 scope:SCOPE_SYS
	s_wait_loadcnt 0x0
	global_inv scope:SCOPE_SYS
	v_and_b32_e32 v1, 1, v1
	s_branch .LBB0_232
.LBB0_237:                              ;   in Loop: Header=BB0_166 Depth=2
	global_load_b64 v[20:21], v[20:21], off
	s_wait_xcnt 0x0
	s_and_saveexec_b32 s40, s0
	s_cbranch_execz .LBB0_165
; %bb.238:                              ;   in Loop: Header=BB0_166 Depth=2
	s_clause 0x2
	global_load_b64 v[22:23], v3, s[16:17] offset:40
	global_load_b64 v[30:31], v3, s[16:17] offset:24 scope:SCOPE_SYS
	global_load_b64 v[24:25], v3, s[16:17]
	s_wait_loadcnt 0x2
	v_readfirstlane_b32 s46, v22
	v_readfirstlane_b32 s47, v23
	s_add_nc_u64 s[0:1], s[46:47], 1
	s_delay_alu instid0(SALU_CYCLE_1) | instskip(NEXT) | instid1(SALU_CYCLE_1)
	s_add_nc_u64 s[38:39], s[0:1], s[38:39]
	s_cmp_eq_u64 s[38:39], 0
	s_cselect_b32 s1, s1, s39
	s_cselect_b32 s0, s0, s38
	s_delay_alu instid0(SALU_CYCLE_1) | instskip(SKIP_1) | instid1(SALU_CYCLE_1)
	v_dual_mov_b32 v29, s1 :: v_dual_mov_b32 v28, s0
	s_and_b64 s[38:39], s[0:1], s[46:47]
	s_mul_u64 s[38:39], s[38:39], 24
	s_wait_loadcnt 0x0
	v_add_nc_u64_e32 v[26:27], s[38:39], v[24:25]
	global_store_b64 v[26:27], v[30:31], off
	global_wb scope:SCOPE_SYS
	s_wait_storecnt 0x0
	s_wait_xcnt 0x0
	global_atomic_cmpswap_b64 v[24:25], v3, v[28:31], s[16:17] offset:24 th:TH_ATOMIC_RETURN scope:SCOPE_SYS
	s_wait_loadcnt 0x0
	v_cmp_ne_u64_e32 vcc_lo, v[24:25], v[30:31]
	s_and_b32 exec_lo, exec_lo, vcc_lo
	s_cbranch_execz .LBB0_165
; %bb.239:                              ;   in Loop: Header=BB0_166 Depth=2
	s_mov_b32 s38, 0
.LBB0_240:                              ;   Parent Loop BB0_137 Depth=1
                                        ;     Parent Loop BB0_166 Depth=2
                                        ; =>    This Inner Loop Header: Depth=3
	v_dual_mov_b32 v22, s0 :: v_dual_mov_b32 v23, s1
	s_sleep 1
	global_store_b64 v[26:27], v[24:25], off
	global_wb scope:SCOPE_SYS
	s_wait_storecnt 0x0
	s_wait_xcnt 0x0
	global_atomic_cmpswap_b64 v[22:23], v3, v[22:25], s[16:17] offset:24 th:TH_ATOMIC_RETURN scope:SCOPE_SYS
	s_wait_loadcnt 0x0
	v_cmp_eq_u64_e32 vcc_lo, v[22:23], v[24:25]
	v_mov_b64_e32 v[24:25], v[22:23]
	s_or_b32 s38, vcc_lo, s38
	s_delay_alu instid0(SALU_CYCLE_1)
	s_and_not1_b32 exec_lo, exec_lo, s38
	s_cbranch_execnz .LBB0_240
	s_branch .LBB0_165
.LBB0_241:                              ;   in Loop: Header=BB0_137 Depth=1
	s_branch .LBB0_270
.LBB0_242:                              ;   in Loop: Header=BB0_137 Depth=1
                                        ; implicit-def: $vgpr20_vgpr21
	s_cbranch_execz .LBB0_270
; %bb.243:                              ;   in Loop: Header=BB0_137 Depth=1
	v_readfirstlane_b32 s0, v46
	v_mov_b64_e32 v[8:9], 0
	s_delay_alu instid0(VALU_DEP_2)
	v_cmp_eq_u32_e64 s0, s0, v46
	s_and_saveexec_b32 s1, s0
	s_cbranch_execz .LBB0_249
; %bb.244:                              ;   in Loop: Header=BB0_137 Depth=1
	global_load_b64 v[22:23], v3, s[16:17] offset:24 scope:SCOPE_SYS
	s_wait_loadcnt 0x0
	global_inv scope:SCOPE_SYS
	s_clause 0x1
	global_load_b64 v[8:9], v3, s[16:17] offset:40
	global_load_b64 v[20:21], v3, s[16:17]
	s_mov_b32 s30, exec_lo
	s_wait_loadcnt 0x1
	v_and_b32_e32 v8, v8, v22
	v_and_b32_e32 v9, v9, v23
	s_delay_alu instid0(VALU_DEP_1) | instskip(SKIP_1) | instid1(VALU_DEP_1)
	v_mul_u64_e32 v[8:9], 24, v[8:9]
	s_wait_loadcnt 0x0
	v_add_nc_u64_e32 v[8:9], v[20:21], v[8:9]
	global_load_b64 v[20:21], v[8:9], off scope:SCOPE_SYS
	s_wait_xcnt 0x0
	s_wait_loadcnt 0x0
	global_atomic_cmpswap_b64 v[8:9], v3, v[20:23], s[16:17] offset:24 th:TH_ATOMIC_RETURN scope:SCOPE_SYS
	s_wait_loadcnt 0x0
	global_inv scope:SCOPE_SYS
	s_wait_xcnt 0x0
	v_cmpx_ne_u64_e64 v[8:9], v[22:23]
	s_cbranch_execz .LBB0_248
; %bb.245:                              ;   in Loop: Header=BB0_137 Depth=1
	s_mov_b32 s31, 0
.LBB0_246:                              ;   Parent Loop BB0_137 Depth=1
                                        ; =>  This Inner Loop Header: Depth=2
	s_sleep 1
	s_clause 0x1
	global_load_b64 v[20:21], v3, s[16:17] offset:40
	global_load_b64 v[24:25], v3, s[16:17]
	v_mov_b64_e32 v[22:23], v[8:9]
	s_wait_loadcnt 0x1
	s_delay_alu instid0(VALU_DEP_1) | instskip(SKIP_1) | instid1(VALU_DEP_1)
	v_and_b32_e32 v1, v20, v22
	s_wait_loadcnt 0x0
	v_mad_nc_u64_u32 v[8:9], v1, 24, v[24:25]
	s_delay_alu instid0(VALU_DEP_3) | instskip(NEXT) | instid1(VALU_DEP_1)
	v_and_b32_e32 v1, v21, v23
	v_mad_u32 v9, v1, 24, v9
	global_load_b64 v[20:21], v[8:9], off scope:SCOPE_SYS
	s_wait_xcnt 0x0
	s_wait_loadcnt 0x0
	global_atomic_cmpswap_b64 v[8:9], v3, v[20:23], s[16:17] offset:24 th:TH_ATOMIC_RETURN scope:SCOPE_SYS
	s_wait_loadcnt 0x0
	global_inv scope:SCOPE_SYS
	v_cmp_eq_u64_e32 vcc_lo, v[8:9], v[22:23]
	s_or_b32 s31, vcc_lo, s31
	s_wait_xcnt 0x0
	s_and_not1_b32 exec_lo, exec_lo, s31
	s_cbranch_execnz .LBB0_246
; %bb.247:                              ;   in Loop: Header=BB0_137 Depth=1
	s_or_b32 exec_lo, exec_lo, s31
.LBB0_248:                              ;   in Loop: Header=BB0_137 Depth=1
	s_delay_alu instid0(SALU_CYCLE_1)
	s_or_b32 exec_lo, exec_lo, s30
.LBB0_249:                              ;   in Loop: Header=BB0_137 Depth=1
	s_delay_alu instid0(SALU_CYCLE_1)
	s_or_b32 exec_lo, exec_lo, s1
	s_wait_loadcnt 0x0
	s_clause 0x1
	global_load_b64 v[20:21], v3, s[16:17] offset:40
	global_load_b128 v[22:25], v3, s[16:17]
	v_readfirstlane_b32 s30, v8
	v_readfirstlane_b32 s31, v9
	s_mov_b32 s1, exec_lo
	s_wait_loadcnt 0x1
	v_and_b32_e32 v20, s30, v20
	v_and_b32_e32 v21, s31, v21
	s_delay_alu instid0(VALU_DEP_1) | instskip(SKIP_1) | instid1(VALU_DEP_1)
	v_mul_u64_e32 v[8:9], 24, v[20:21]
	s_wait_loadcnt 0x0
	v_add_nc_u64_e32 v[8:9], v[22:23], v[8:9]
	s_wait_xcnt 0x0
	s_and_saveexec_b32 s34, s0
	s_cbranch_execz .LBB0_251
; %bb.250:                              ;   in Loop: Header=BB0_137 Depth=1
	v_mov_b32_e32 v2, s1
	global_store_b128 v[8:9], v[2:5], off offset:8
.LBB0_251:                              ;   in Loop: Header=BB0_137 Depth=1
	s_wait_xcnt 0x0
	s_or_b32 exec_lo, exec_lo, s34
	v_lshlrev_b64_e32 v[20:21], 12, v[20:21]
	v_mov_b64_e32 v[28:29], s[10:11]
	v_mov_b64_e32 v[26:27], s[8:9]
	v_and_or_b32 v18, 0xffffff1f, v18, 32
	s_delay_alu instid0(VALU_DEP_4) | instskip(SKIP_1) | instid1(VALU_DEP_2)
	v_add_nc_u64_e32 v[24:25], v[24:25], v[20:21]
	v_dual_mov_b32 v20, v3 :: v_dual_mov_b32 v21, v3
	v_readfirstlane_b32 s34, v24
	s_delay_alu instid0(VALU_DEP_3)
	v_readfirstlane_b32 s35, v25
	s_clause 0x3
	global_store_b128 v0, v[18:21], s[34:35]
	global_store_b128 v0, v[26:29], s[34:35] offset:16
	global_store_b128 v0, v[26:29], s[34:35] offset:32
	;; [unrolled: 1-line block ×3, first 2 shown]
	s_wait_xcnt 0x0
	s_and_saveexec_b32 s1, s0
	s_cbranch_execz .LBB0_259
; %bb.252:                              ;   in Loop: Header=BB0_137 Depth=1
	s_clause 0x1
	global_load_b64 v[28:29], v3, s[16:17] offset:32 scope:SCOPE_SYS
	global_load_b64 v[18:19], v3, s[16:17] offset:40
	s_mov_b32 s34, exec_lo
	v_dual_mov_b32 v26, s30 :: v_dual_mov_b32 v27, s31
	s_wait_loadcnt 0x0
	v_and_b32_e32 v19, s31, v19
	v_and_b32_e32 v18, s30, v18
	s_delay_alu instid0(VALU_DEP_1) | instskip(NEXT) | instid1(VALU_DEP_1)
	v_mul_u64_e32 v[18:19], 24, v[18:19]
	v_add_nc_u64_e32 v[22:23], v[22:23], v[18:19]
	global_store_b64 v[22:23], v[28:29], off
	global_wb scope:SCOPE_SYS
	s_wait_storecnt 0x0
	s_wait_xcnt 0x0
	global_atomic_cmpswap_b64 v[20:21], v3, v[26:29], s[16:17] offset:32 th:TH_ATOMIC_RETURN scope:SCOPE_SYS
	s_wait_loadcnt 0x0
	v_cmpx_ne_u64_e64 v[20:21], v[28:29]
	s_cbranch_execz .LBB0_255
; %bb.253:                              ;   in Loop: Header=BB0_137 Depth=1
	s_mov_b32 s35, 0
.LBB0_254:                              ;   Parent Loop BB0_137 Depth=1
                                        ; =>  This Inner Loop Header: Depth=2
	v_dual_mov_b32 v18, s30 :: v_dual_mov_b32 v19, s31
	s_sleep 1
	global_store_b64 v[22:23], v[20:21], off
	global_wb scope:SCOPE_SYS
	s_wait_storecnt 0x0
	s_wait_xcnt 0x0
	global_atomic_cmpswap_b64 v[18:19], v3, v[18:21], s[16:17] offset:32 th:TH_ATOMIC_RETURN scope:SCOPE_SYS
	s_wait_loadcnt 0x0
	v_cmp_eq_u64_e32 vcc_lo, v[18:19], v[20:21]
	v_mov_b64_e32 v[20:21], v[18:19]
	s_or_b32 s35, vcc_lo, s35
	s_delay_alu instid0(SALU_CYCLE_1)
	s_and_not1_b32 exec_lo, exec_lo, s35
	s_cbranch_execnz .LBB0_254
.LBB0_255:                              ;   in Loop: Header=BB0_137 Depth=1
	s_or_b32 exec_lo, exec_lo, s34
	global_load_b64 v[18:19], v3, s[16:17] offset:16
	s_mov_b32 s35, exec_lo
	s_mov_b32 s34, exec_lo
	v_mbcnt_lo_u32_b32 v1, s35, 0
	s_wait_xcnt 0x0
	s_delay_alu instid0(VALU_DEP_1)
	v_cmpx_eq_u32_e32 0, v1
	s_cbranch_execz .LBB0_257
; %bb.256:                              ;   in Loop: Header=BB0_137 Depth=1
	s_bcnt1_i32_b32 s35, s35
	s_delay_alu instid0(SALU_CYCLE_1)
	v_mov_b32_e32 v2, s35
	global_wb scope:SCOPE_SYS
	s_wait_loadcnt 0x0
	s_wait_storecnt 0x0
	global_atomic_add_u64 v[18:19], v[2:3], off offset:8 scope:SCOPE_SYS
.LBB0_257:                              ;   in Loop: Header=BB0_137 Depth=1
	s_wait_xcnt 0x0
	s_or_b32 exec_lo, exec_lo, s34
	s_wait_loadcnt 0x0
	global_load_b64 v[20:21], v[18:19], off offset:16
	s_wait_loadcnt 0x0
	v_cmp_eq_u64_e32 vcc_lo, 0, v[20:21]
	s_cbranch_vccnz .LBB0_259
; %bb.258:                              ;   in Loop: Header=BB0_137 Depth=1
	global_load_b32 v2, v[18:19], off offset:24
	s_wait_loadcnt 0x0
	v_readfirstlane_b32 s34, v2
	global_wb scope:SCOPE_SYS
	s_wait_storecnt 0x0
	s_wait_xcnt 0x0
	global_store_b64 v[20:21], v[2:3], off scope:SCOPE_SYS
	s_and_b32 m0, s34, 0xffffff
	s_sendmsg sendmsg(MSG_INTERRUPT)
.LBB0_259:                              ;   in Loop: Header=BB0_137 Depth=1
	s_wait_xcnt 0x0
	s_or_b32 exec_lo, exec_lo, s1
	v_mov_b32_e32 v1, v3
	s_delay_alu instid0(VALU_DEP_1)
	v_add_nc_u64_e32 v[18:19], v[24:25], v[0:1]
	s_branch .LBB0_263
.LBB0_260:                              ;   in Loop: Header=BB0_263 Depth=2
	s_wait_xcnt 0x0
	s_or_b32 exec_lo, exec_lo, s1
	s_delay_alu instid0(VALU_DEP_1)
	v_readfirstlane_b32 s1, v1
	s_cmp_eq_u32 s1, 0
	s_cbranch_scc1 .LBB0_262
; %bb.261:                              ;   in Loop: Header=BB0_263 Depth=2
	s_sleep 1
	s_cbranch_execnz .LBB0_263
	s_branch .LBB0_265
.LBB0_262:                              ;   in Loop: Header=BB0_137 Depth=1
	s_branch .LBB0_265
.LBB0_263:                              ;   Parent Loop BB0_137 Depth=1
                                        ; =>  This Inner Loop Header: Depth=2
	v_mov_b32_e32 v1, 1
	s_and_saveexec_b32 s1, s0
	s_cbranch_execz .LBB0_260
; %bb.264:                              ;   in Loop: Header=BB0_263 Depth=2
	global_load_b32 v1, v[8:9], off offset:20 scope:SCOPE_SYS
	s_wait_loadcnt 0x0
	global_inv scope:SCOPE_SYS
	v_and_b32_e32 v1, 1, v1
	s_branch .LBB0_260
.LBB0_265:                              ;   in Loop: Header=BB0_137 Depth=1
	global_load_b64 v[20:21], v[18:19], off
	s_wait_xcnt 0x0
	s_and_saveexec_b32 s34, s0
	s_cbranch_execz .LBB0_269
; %bb.266:                              ;   in Loop: Header=BB0_137 Depth=1
	s_clause 0x2
	global_load_b64 v[8:9], v3, s[16:17] offset:40
	global_load_b64 v[26:27], v3, s[16:17] offset:24 scope:SCOPE_SYS
	global_load_b64 v[18:19], v3, s[16:17]
	s_wait_loadcnt 0x2
	v_readfirstlane_b32 s36, v8
	v_readfirstlane_b32 s37, v9
	s_add_nc_u64 s[0:1], s[36:37], 1
	s_delay_alu instid0(SALU_CYCLE_1) | instskip(NEXT) | instid1(SALU_CYCLE_1)
	s_add_nc_u64 s[30:31], s[0:1], s[30:31]
	s_cmp_eq_u64 s[30:31], 0
	s_cselect_b32 s1, s1, s31
	s_cselect_b32 s0, s0, s30
	s_delay_alu instid0(SALU_CYCLE_1) | instskip(SKIP_1) | instid1(SALU_CYCLE_1)
	v_dual_mov_b32 v25, s1 :: v_dual_mov_b32 v24, s0
	s_and_b64 s[30:31], s[0:1], s[36:37]
	s_mul_u64 s[30:31], s[30:31], 24
	s_wait_loadcnt 0x0
	v_add_nc_u64_e32 v[8:9], s[30:31], v[18:19]
	global_store_b64 v[8:9], v[26:27], off
	global_wb scope:SCOPE_SYS
	s_wait_storecnt 0x0
	s_wait_xcnt 0x0
	global_atomic_cmpswap_b64 v[24:25], v3, v[24:27], s[16:17] offset:24 th:TH_ATOMIC_RETURN scope:SCOPE_SYS
	s_wait_loadcnt 0x0
	v_cmp_ne_u64_e32 vcc_lo, v[24:25], v[26:27]
	s_and_b32 exec_lo, exec_lo, vcc_lo
	s_cbranch_execz .LBB0_269
; %bb.267:                              ;   in Loop: Header=BB0_137 Depth=1
	s_mov_b32 s30, 0
.LBB0_268:                              ;   Parent Loop BB0_137 Depth=1
                                        ; =>  This Inner Loop Header: Depth=2
	v_dual_mov_b32 v22, s0 :: v_dual_mov_b32 v23, s1
	s_sleep 1
	global_store_b64 v[8:9], v[24:25], off
	global_wb scope:SCOPE_SYS
	s_wait_storecnt 0x0
	s_wait_xcnt 0x0
	global_atomic_cmpswap_b64 v[18:19], v3, v[22:25], s[16:17] offset:24 th:TH_ATOMIC_RETURN scope:SCOPE_SYS
	s_wait_loadcnt 0x0
	v_cmp_eq_u64_e32 vcc_lo, v[18:19], v[24:25]
	v_mov_b64_e32 v[24:25], v[18:19]
	s_or_b32 s30, vcc_lo, s30
	s_delay_alu instid0(SALU_CYCLE_1)
	s_and_not1_b32 exec_lo, exec_lo, s30
	s_cbranch_execnz .LBB0_268
.LBB0_269:                              ;   in Loop: Header=BB0_137 Depth=1
	s_or_b32 exec_lo, exec_lo, s34
.LBB0_270:                              ;   in Loop: Header=BB0_137 Depth=1
	v_readfirstlane_b32 s0, v46
	v_mov_b64_e32 v[8:9], 0
	s_delay_alu instid0(VALU_DEP_2)
	v_cmp_eq_u32_e64 s0, s0, v46
	s_and_saveexec_b32 s1, s0
	s_cbranch_execz .LBB0_276
; %bb.271:                              ;   in Loop: Header=BB0_137 Depth=1
	global_load_b64 v[24:25], v3, s[16:17] offset:24 scope:SCOPE_SYS
	s_wait_loadcnt 0x0
	global_inv scope:SCOPE_SYS
	s_clause 0x1
	global_load_b64 v[8:9], v3, s[16:17] offset:40
	global_load_b64 v[18:19], v3, s[16:17]
	s_mov_b32 s30, exec_lo
	s_wait_loadcnt 0x1
	v_and_b32_e32 v8, v8, v24
	v_and_b32_e32 v9, v9, v25
	s_delay_alu instid0(VALU_DEP_1) | instskip(SKIP_1) | instid1(VALU_DEP_1)
	v_mul_u64_e32 v[8:9], 24, v[8:9]
	s_wait_loadcnt 0x0
	v_add_nc_u64_e32 v[8:9], v[18:19], v[8:9]
	global_load_b64 v[22:23], v[8:9], off scope:SCOPE_SYS
	s_wait_xcnt 0x0
	s_wait_loadcnt 0x0
	global_atomic_cmpswap_b64 v[8:9], v3, v[22:25], s[16:17] offset:24 th:TH_ATOMIC_RETURN scope:SCOPE_SYS
	s_wait_loadcnt 0x0
	global_inv scope:SCOPE_SYS
	s_wait_xcnt 0x0
	v_cmpx_ne_u64_e64 v[8:9], v[24:25]
	s_cbranch_execz .LBB0_275
; %bb.272:                              ;   in Loop: Header=BB0_137 Depth=1
	s_mov_b32 s31, 0
.LBB0_273:                              ;   Parent Loop BB0_137 Depth=1
                                        ; =>  This Inner Loop Header: Depth=2
	s_sleep 1
	s_clause 0x1
	global_load_b64 v[18:19], v3, s[16:17] offset:40
	global_load_b64 v[22:23], v3, s[16:17]
	v_mov_b64_e32 v[24:25], v[8:9]
	s_wait_loadcnt 0x1
	s_delay_alu instid0(VALU_DEP_1) | instskip(SKIP_1) | instid1(VALU_DEP_1)
	v_and_b32_e32 v1, v18, v24
	s_wait_loadcnt 0x0
	v_mad_nc_u64_u32 v[8:9], v1, 24, v[22:23]
	s_delay_alu instid0(VALU_DEP_3) | instskip(NEXT) | instid1(VALU_DEP_1)
	v_and_b32_e32 v1, v19, v25
	v_mad_u32 v9, v1, 24, v9
	global_load_b64 v[22:23], v[8:9], off scope:SCOPE_SYS
	s_wait_xcnt 0x0
	s_wait_loadcnt 0x0
	global_atomic_cmpswap_b64 v[8:9], v3, v[22:25], s[16:17] offset:24 th:TH_ATOMIC_RETURN scope:SCOPE_SYS
	s_wait_loadcnt 0x0
	global_inv scope:SCOPE_SYS
	v_cmp_eq_u64_e32 vcc_lo, v[8:9], v[24:25]
	s_or_b32 s31, vcc_lo, s31
	s_wait_xcnt 0x0
	s_and_not1_b32 exec_lo, exec_lo, s31
	s_cbranch_execnz .LBB0_273
; %bb.274:                              ;   in Loop: Header=BB0_137 Depth=1
	s_or_b32 exec_lo, exec_lo, s31
.LBB0_275:                              ;   in Loop: Header=BB0_137 Depth=1
	s_delay_alu instid0(SALU_CYCLE_1)
	s_or_b32 exec_lo, exec_lo, s30
.LBB0_276:                              ;   in Loop: Header=BB0_137 Depth=1
	s_delay_alu instid0(SALU_CYCLE_1)
	s_or_b32 exec_lo, exec_lo, s1
	s_wait_loadcnt 0x0
	s_clause 0x1
	global_load_b64 v[18:19], v3, s[16:17] offset:40
	global_load_b128 v[24:27], v3, s[16:17]
	v_readfirstlane_b32 s30, v8
	v_readfirstlane_b32 s31, v9
	s_mov_b32 s1, exec_lo
	s_wait_loadcnt 0x1
	v_and_b32_e32 v18, s30, v18
	v_and_b32_e32 v19, s31, v19
	s_delay_alu instid0(VALU_DEP_1) | instskip(SKIP_1) | instid1(VALU_DEP_1)
	v_mul_u64_e32 v[8:9], 24, v[18:19]
	s_wait_loadcnt 0x0
	v_add_nc_u64_e32 v[8:9], v[24:25], v[8:9]
	s_wait_xcnt 0x0
	s_and_saveexec_b32 s34, s0
	s_cbranch_execz .LBB0_278
; %bb.277:                              ;   in Loop: Header=BB0_137 Depth=1
	v_mov_b32_e32 v2, s1
	global_store_b128 v[8:9], v[2:5], off offset:8
.LBB0_278:                              ;   in Loop: Header=BB0_137 Depth=1
	s_wait_xcnt 0x0
	s_or_b32 exec_lo, exec_lo, s34
	v_lshlrev_b64_e32 v[18:19], 12, v[18:19]
	v_and_or_b32 v20, 0xffffff1d, v20, 34
	v_dual_mov_b32 v22, s12 :: v_dual_mov_b32 v23, v3
	s_delay_alu instid0(VALU_DEP_3) | instskip(SKIP_2) | instid1(VALU_DEP_3)
	v_add_nc_u64_e32 v[18:19], v[26:27], v[18:19]
	v_mov_b64_e32 v[28:29], s[10:11]
	v_mov_b64_e32 v[26:27], s[8:9]
	v_readfirstlane_b32 s34, v18
	s_delay_alu instid0(VALU_DEP_4)
	v_readfirstlane_b32 s35, v19
	s_clause 0x3
	global_store_b128 v0, v[20:23], s[34:35]
	global_store_b128 v0, v[26:29], s[34:35] offset:16
	global_store_b128 v0, v[26:29], s[34:35] offset:32
	;; [unrolled: 1-line block ×3, first 2 shown]
	s_wait_xcnt 0x0
	s_and_saveexec_b32 s1, s0
	s_cbranch_execz .LBB0_286
; %bb.279:                              ;   in Loop: Header=BB0_137 Depth=1
	s_clause 0x1
	global_load_b64 v[26:27], v3, s[16:17] offset:32 scope:SCOPE_SYS
	global_load_b64 v[18:19], v3, s[16:17] offset:40
	s_mov_b32 s34, exec_lo
	s_wait_loadcnt 0x0
	v_and_b32_e32 v18, s30, v18
	v_and_b32_e32 v19, s31, v19
	s_delay_alu instid0(VALU_DEP_1) | instskip(NEXT) | instid1(VALU_DEP_1)
	v_mul_u64_e32 v[18:19], 24, v[18:19]
	v_add_nc_u64_e32 v[22:23], v[24:25], v[18:19]
	v_dual_mov_b32 v24, s30 :: v_dual_mov_b32 v25, s31
	global_store_b64 v[22:23], v[26:27], off
	global_wb scope:SCOPE_SYS
	s_wait_storecnt 0x0
	s_wait_xcnt 0x0
	global_atomic_cmpswap_b64 v[20:21], v3, v[24:27], s[16:17] offset:32 th:TH_ATOMIC_RETURN scope:SCOPE_SYS
	s_wait_loadcnt 0x0
	v_cmpx_ne_u64_e64 v[20:21], v[26:27]
	s_cbranch_execz .LBB0_282
; %bb.280:                              ;   in Loop: Header=BB0_137 Depth=1
	s_mov_b32 s35, 0
.LBB0_281:                              ;   Parent Loop BB0_137 Depth=1
                                        ; =>  This Inner Loop Header: Depth=2
	v_dual_mov_b32 v18, s30 :: v_dual_mov_b32 v19, s31
	s_sleep 1
	global_store_b64 v[22:23], v[20:21], off
	global_wb scope:SCOPE_SYS
	s_wait_storecnt 0x0
	s_wait_xcnt 0x0
	global_atomic_cmpswap_b64 v[18:19], v3, v[18:21], s[16:17] offset:32 th:TH_ATOMIC_RETURN scope:SCOPE_SYS
	s_wait_loadcnt 0x0
	v_cmp_eq_u64_e32 vcc_lo, v[18:19], v[20:21]
	v_mov_b64_e32 v[20:21], v[18:19]
	s_or_b32 s35, vcc_lo, s35
	s_delay_alu instid0(SALU_CYCLE_1)
	s_and_not1_b32 exec_lo, exec_lo, s35
	s_cbranch_execnz .LBB0_281
.LBB0_282:                              ;   in Loop: Header=BB0_137 Depth=1
	s_or_b32 exec_lo, exec_lo, s34
	global_load_b64 v[18:19], v3, s[16:17] offset:16
	s_mov_b32 s35, exec_lo
	s_mov_b32 s34, exec_lo
	v_mbcnt_lo_u32_b32 v1, s35, 0
	s_wait_xcnt 0x0
	s_delay_alu instid0(VALU_DEP_1)
	v_cmpx_eq_u32_e32 0, v1
	s_cbranch_execz .LBB0_284
; %bb.283:                              ;   in Loop: Header=BB0_137 Depth=1
	s_bcnt1_i32_b32 s35, s35
	s_delay_alu instid0(SALU_CYCLE_1)
	v_mov_b32_e32 v2, s35
	global_wb scope:SCOPE_SYS
	s_wait_loadcnt 0x0
	s_wait_storecnt 0x0
	global_atomic_add_u64 v[18:19], v[2:3], off offset:8 scope:SCOPE_SYS
.LBB0_284:                              ;   in Loop: Header=BB0_137 Depth=1
	s_wait_xcnt 0x0
	s_or_b32 exec_lo, exec_lo, s34
	s_wait_loadcnt 0x0
	global_load_b64 v[20:21], v[18:19], off offset:16
	s_wait_loadcnt 0x0
	v_cmp_eq_u64_e32 vcc_lo, 0, v[20:21]
	s_cbranch_vccnz .LBB0_286
; %bb.285:                              ;   in Loop: Header=BB0_137 Depth=1
	global_load_b32 v2, v[18:19], off offset:24
	s_wait_loadcnt 0x0
	v_readfirstlane_b32 s34, v2
	global_wb scope:SCOPE_SYS
	s_wait_storecnt 0x0
	s_wait_xcnt 0x0
	global_store_b64 v[20:21], v[2:3], off scope:SCOPE_SYS
	s_and_b32 m0, s34, 0xffffff
	s_sendmsg sendmsg(MSG_INTERRUPT)
.LBB0_286:                              ;   in Loop: Header=BB0_137 Depth=1
	s_wait_xcnt 0x0
	s_or_b32 exec_lo, exec_lo, s1
	s_branch .LBB0_290
.LBB0_287:                              ;   in Loop: Header=BB0_290 Depth=2
	s_wait_xcnt 0x0
	s_or_b32 exec_lo, exec_lo, s1
	s_delay_alu instid0(VALU_DEP_1)
	v_readfirstlane_b32 s1, v1
	s_cmp_eq_u32 s1, 0
	s_cbranch_scc1 .LBB0_289
; %bb.288:                              ;   in Loop: Header=BB0_290 Depth=2
	s_sleep 1
	s_cbranch_execnz .LBB0_290
	s_branch .LBB0_292
.LBB0_289:                              ;   in Loop: Header=BB0_137 Depth=1
	s_branch .LBB0_292
.LBB0_290:                              ;   Parent Loop BB0_137 Depth=1
                                        ; =>  This Inner Loop Header: Depth=2
	v_mov_b32_e32 v1, 1
	s_and_saveexec_b32 s1, s0
	s_cbranch_execz .LBB0_287
; %bb.291:                              ;   in Loop: Header=BB0_290 Depth=2
	global_load_b32 v1, v[8:9], off offset:20 scope:SCOPE_SYS
	s_wait_loadcnt 0x0
	global_inv scope:SCOPE_SYS
	v_and_b32_e32 v1, 1, v1
	s_branch .LBB0_287
.LBB0_292:                              ;   in Loop: Header=BB0_137 Depth=1
	s_and_saveexec_b32 s34, s0
	s_cbranch_execz .LBB0_296
; %bb.293:                              ;   in Loop: Header=BB0_137 Depth=1
	s_clause 0x2
	global_load_b64 v[8:9], v3, s[16:17] offset:40
	global_load_b64 v[22:23], v3, s[16:17] offset:24 scope:SCOPE_SYS
	global_load_b64 v[18:19], v3, s[16:17]
	s_wait_loadcnt 0x2
	v_readfirstlane_b32 s36, v8
	v_readfirstlane_b32 s37, v9
	s_add_nc_u64 s[0:1], s[36:37], 1
	s_delay_alu instid0(SALU_CYCLE_1) | instskip(NEXT) | instid1(SALU_CYCLE_1)
	s_add_nc_u64 s[30:31], s[0:1], s[30:31]
	s_cmp_eq_u64 s[30:31], 0
	s_cselect_b32 s1, s1, s31
	s_cselect_b32 s0, s0, s30
	s_delay_alu instid0(SALU_CYCLE_1) | instskip(SKIP_1) | instid1(SALU_CYCLE_1)
	v_dual_mov_b32 v21, s1 :: v_dual_mov_b32 v20, s0
	s_and_b64 s[30:31], s[0:1], s[36:37]
	s_mul_u64 s[30:31], s[30:31], 24
	s_wait_loadcnt 0x0
	v_add_nc_u64_e32 v[8:9], s[30:31], v[18:19]
	global_store_b64 v[8:9], v[22:23], off
	global_wb scope:SCOPE_SYS
	s_wait_storecnt 0x0
	s_wait_xcnt 0x0
	global_atomic_cmpswap_b64 v[20:21], v3, v[20:23], s[16:17] offset:24 th:TH_ATOMIC_RETURN scope:SCOPE_SYS
	s_wait_loadcnt 0x0
	v_cmp_ne_u64_e32 vcc_lo, v[20:21], v[22:23]
	s_and_b32 exec_lo, exec_lo, vcc_lo
	s_cbranch_execz .LBB0_296
; %bb.294:                              ;   in Loop: Header=BB0_137 Depth=1
	s_mov_b32 s30, 0
.LBB0_295:                              ;   Parent Loop BB0_137 Depth=1
                                        ; =>  This Inner Loop Header: Depth=2
	v_dual_mov_b32 v18, s0 :: v_dual_mov_b32 v19, s1
	s_sleep 1
	global_store_b64 v[8:9], v[20:21], off
	global_wb scope:SCOPE_SYS
	s_wait_storecnt 0x0
	s_wait_xcnt 0x0
	global_atomic_cmpswap_b64 v[18:19], v3, v[18:21], s[16:17] offset:24 th:TH_ATOMIC_RETURN scope:SCOPE_SYS
	s_wait_loadcnt 0x0
	v_cmp_eq_u64_e32 vcc_lo, v[18:19], v[20:21]
	v_mov_b64_e32 v[20:21], v[18:19]
	s_or_b32 s30, vcc_lo, s30
	s_delay_alu instid0(SALU_CYCLE_1)
	s_and_not1_b32 exec_lo, exec_lo, s30
	s_cbranch_execnz .LBB0_295
.LBB0_296:                              ;   in Loop: Header=BB0_137 Depth=1
	s_or_b32 exec_lo, exec_lo, s34
	v_readfirstlane_b32 s0, v46
	v_mov_b64_e32 v[8:9], 0
	s_delay_alu instid0(VALU_DEP_2)
	v_cmp_eq_u32_e64 s0, s0, v46
	s_and_saveexec_b32 s1, s0
	s_cbranch_execz .LBB0_302
; %bb.297:                              ;   in Loop: Header=BB0_137 Depth=1
	global_load_b64 v[20:21], v3, s[16:17] offset:24 scope:SCOPE_SYS
	s_wait_loadcnt 0x0
	global_inv scope:SCOPE_SYS
	s_clause 0x1
	global_load_b64 v[8:9], v3, s[16:17] offset:40
	global_load_b64 v[18:19], v3, s[16:17]
	s_mov_b32 s30, exec_lo
	s_wait_loadcnt 0x1
	v_and_b32_e32 v8, v8, v20
	v_and_b32_e32 v9, v9, v21
	s_delay_alu instid0(VALU_DEP_1) | instskip(SKIP_1) | instid1(VALU_DEP_1)
	v_mul_u64_e32 v[8:9], 24, v[8:9]
	s_wait_loadcnt 0x0
	v_add_nc_u64_e32 v[8:9], v[18:19], v[8:9]
	global_load_b64 v[18:19], v[8:9], off scope:SCOPE_SYS
	s_wait_xcnt 0x0
	s_wait_loadcnt 0x0
	global_atomic_cmpswap_b64 v[8:9], v3, v[18:21], s[16:17] offset:24 th:TH_ATOMIC_RETURN scope:SCOPE_SYS
	s_wait_loadcnt 0x0
	global_inv scope:SCOPE_SYS
	s_wait_xcnt 0x0
	v_cmpx_ne_u64_e64 v[8:9], v[20:21]
	s_cbranch_execz .LBB0_301
; %bb.298:                              ;   in Loop: Header=BB0_137 Depth=1
	s_mov_b32 s31, 0
.LBB0_299:                              ;   Parent Loop BB0_137 Depth=1
                                        ; =>  This Inner Loop Header: Depth=2
	s_sleep 1
	s_clause 0x1
	global_load_b64 v[18:19], v3, s[16:17] offset:40
	global_load_b64 v[22:23], v3, s[16:17]
	v_mov_b64_e32 v[20:21], v[8:9]
	s_wait_loadcnt 0x1
	s_delay_alu instid0(VALU_DEP_1) | instskip(SKIP_1) | instid1(VALU_DEP_1)
	v_and_b32_e32 v1, v18, v20
	s_wait_loadcnt 0x0
	v_mad_nc_u64_u32 v[8:9], v1, 24, v[22:23]
	s_delay_alu instid0(VALU_DEP_3) | instskip(NEXT) | instid1(VALU_DEP_1)
	v_and_b32_e32 v1, v19, v21
	v_mad_u32 v9, v1, 24, v9
	global_load_b64 v[18:19], v[8:9], off scope:SCOPE_SYS
	s_wait_xcnt 0x0
	s_wait_loadcnt 0x0
	global_atomic_cmpswap_b64 v[8:9], v3, v[18:21], s[16:17] offset:24 th:TH_ATOMIC_RETURN scope:SCOPE_SYS
	s_wait_loadcnt 0x0
	global_inv scope:SCOPE_SYS
	v_cmp_eq_u64_e32 vcc_lo, v[8:9], v[20:21]
	s_or_b32 s31, vcc_lo, s31
	s_wait_xcnt 0x0
	s_and_not1_b32 exec_lo, exec_lo, s31
	s_cbranch_execnz .LBB0_299
; %bb.300:                              ;   in Loop: Header=BB0_137 Depth=1
	s_or_b32 exec_lo, exec_lo, s31
.LBB0_301:                              ;   in Loop: Header=BB0_137 Depth=1
	s_delay_alu instid0(SALU_CYCLE_1)
	s_or_b32 exec_lo, exec_lo, s30
.LBB0_302:                              ;   in Loop: Header=BB0_137 Depth=1
	s_delay_alu instid0(SALU_CYCLE_1)
	s_or_b32 exec_lo, exec_lo, s1
	s_clause 0x1
	global_load_b64 v[22:23], v3, s[16:17] offset:40
	global_load_b128 v[18:21], v3, s[16:17]
	v_readfirstlane_b32 s30, v8
	v_readfirstlane_b32 s31, v9
	s_mov_b32 s1, exec_lo
	s_wait_loadcnt 0x1
	v_and_b32_e32 v8, s30, v22
	v_and_b32_e32 v9, s31, v23
	s_delay_alu instid0(VALU_DEP_1) | instskip(SKIP_1) | instid1(VALU_DEP_1)
	v_mul_u64_e32 v[22:23], 24, v[8:9]
	s_wait_loadcnt 0x0
	v_add_nc_u64_e32 v[22:23], v[18:19], v[22:23]
	s_wait_xcnt 0x0
	s_and_saveexec_b32 s34, s0
	s_cbranch_execz .LBB0_304
; %bb.303:                              ;   in Loop: Header=BB0_137 Depth=1
	v_mov_b32_e32 v2, s1
	global_store_b128 v[22:23], v[2:5], off offset:8
.LBB0_304:                              ;   in Loop: Header=BB0_137 Depth=1
	s_wait_xcnt 0x0
	s_or_b32 exec_lo, exec_lo, s34
	v_lshlrev_b64_e32 v[8:9], 12, v[8:9]
	v_mov_b64_e32 v[28:29], s[10:11]
	v_mov_b64_e32 v[26:27], s[8:9]
	v_mov_b32_e32 v7, v3
	s_delay_alu instid0(VALU_DEP_4) | instskip(SKIP_1) | instid1(VALU_DEP_2)
	v_add_nc_u64_e32 v[24:25], v[20:21], v[8:9]
	v_dual_mov_b32 v8, v3 :: v_dual_mov_b32 v9, v3
	v_readfirstlane_b32 s34, v24
	s_delay_alu instid0(VALU_DEP_3)
	v_readfirstlane_b32 s35, v25
	s_clause 0x3
	global_store_b128 v0, v[6:9], s[34:35]
	global_store_b128 v0, v[26:29], s[34:35] offset:16
	global_store_b128 v0, v[26:29], s[34:35] offset:32
	;; [unrolled: 1-line block ×3, first 2 shown]
	s_wait_xcnt 0x0
	s_and_saveexec_b32 s1, s0
	s_cbranch_execz .LBB0_312
; %bb.305:                              ;   in Loop: Header=BB0_137 Depth=1
	s_clause 0x1
	global_load_b64 v[28:29], v3, s[16:17] offset:32 scope:SCOPE_SYS
	global_load_b64 v[8:9], v3, s[16:17] offset:40
	s_mov_b32 s34, exec_lo
	v_dual_mov_b32 v26, s30 :: v_dual_mov_b32 v27, s31
	s_wait_loadcnt 0x0
	v_and_b32_e32 v9, s31, v9
	v_and_b32_e32 v8, s30, v8
	s_delay_alu instid0(VALU_DEP_1) | instskip(NEXT) | instid1(VALU_DEP_1)
	v_mul_u64_e32 v[8:9], 24, v[8:9]
	v_add_nc_u64_e32 v[8:9], v[18:19], v[8:9]
	global_store_b64 v[8:9], v[28:29], off
	global_wb scope:SCOPE_SYS
	s_wait_storecnt 0x0
	s_wait_xcnt 0x0
	global_atomic_cmpswap_b64 v[20:21], v3, v[26:29], s[16:17] offset:32 th:TH_ATOMIC_RETURN scope:SCOPE_SYS
	s_wait_loadcnt 0x0
	v_cmpx_ne_u64_e64 v[20:21], v[28:29]
	s_cbranch_execz .LBB0_308
; %bb.306:                              ;   in Loop: Header=BB0_137 Depth=1
	s_mov_b32 s35, 0
.LBB0_307:                              ;   Parent Loop BB0_137 Depth=1
                                        ; =>  This Inner Loop Header: Depth=2
	v_dual_mov_b32 v18, s30 :: v_dual_mov_b32 v19, s31
	s_sleep 1
	global_store_b64 v[8:9], v[20:21], off
	global_wb scope:SCOPE_SYS
	s_wait_storecnt 0x0
	s_wait_xcnt 0x0
	global_atomic_cmpswap_b64 v[18:19], v3, v[18:21], s[16:17] offset:32 th:TH_ATOMIC_RETURN scope:SCOPE_SYS
	s_wait_loadcnt 0x0
	v_cmp_eq_u64_e32 vcc_lo, v[18:19], v[20:21]
	v_mov_b64_e32 v[20:21], v[18:19]
	s_or_b32 s35, vcc_lo, s35
	s_delay_alu instid0(SALU_CYCLE_1)
	s_and_not1_b32 exec_lo, exec_lo, s35
	s_cbranch_execnz .LBB0_307
.LBB0_308:                              ;   in Loop: Header=BB0_137 Depth=1
	s_or_b32 exec_lo, exec_lo, s34
	global_load_b64 v[8:9], v3, s[16:17] offset:16
	s_mov_b32 s35, exec_lo
	s_mov_b32 s34, exec_lo
	v_mbcnt_lo_u32_b32 v1, s35, 0
	s_wait_xcnt 0x0
	s_delay_alu instid0(VALU_DEP_1)
	v_cmpx_eq_u32_e32 0, v1
	s_cbranch_execz .LBB0_310
; %bb.309:                              ;   in Loop: Header=BB0_137 Depth=1
	s_bcnt1_i32_b32 s35, s35
	s_delay_alu instid0(SALU_CYCLE_1)
	v_mov_b32_e32 v2, s35
	global_wb scope:SCOPE_SYS
	s_wait_loadcnt 0x0
	s_wait_storecnt 0x0
	global_atomic_add_u64 v[8:9], v[2:3], off offset:8 scope:SCOPE_SYS
.LBB0_310:                              ;   in Loop: Header=BB0_137 Depth=1
	s_wait_xcnt 0x0
	s_or_b32 exec_lo, exec_lo, s34
	s_wait_loadcnt 0x0
	global_load_b64 v[18:19], v[8:9], off offset:16
	s_wait_loadcnt 0x0
	v_cmp_eq_u64_e32 vcc_lo, 0, v[18:19]
	s_cbranch_vccnz .LBB0_312
; %bb.311:                              ;   in Loop: Header=BB0_137 Depth=1
	global_load_b32 v2, v[8:9], off offset:24
	s_wait_loadcnt 0x0
	v_readfirstlane_b32 s34, v2
	global_wb scope:SCOPE_SYS
	s_wait_storecnt 0x0
	s_wait_xcnt 0x0
	global_store_b64 v[18:19], v[2:3], off scope:SCOPE_SYS
	s_and_b32 m0, s34, 0xffffff
	s_sendmsg sendmsg(MSG_INTERRUPT)
.LBB0_312:                              ;   in Loop: Header=BB0_137 Depth=1
	s_wait_xcnt 0x0
	s_or_b32 exec_lo, exec_lo, s1
	v_mov_b32_e32 v1, v3
	s_delay_alu instid0(VALU_DEP_1)
	v_add_nc_u64_e32 v[8:9], v[24:25], v[0:1]
	s_branch .LBB0_316
.LBB0_313:                              ;   in Loop: Header=BB0_316 Depth=2
	s_wait_xcnt 0x0
	s_or_b32 exec_lo, exec_lo, s1
	s_delay_alu instid0(VALU_DEP_1)
	v_readfirstlane_b32 s1, v1
	s_cmp_eq_u32 s1, 0
	s_cbranch_scc1 .LBB0_315
; %bb.314:                              ;   in Loop: Header=BB0_316 Depth=2
	s_sleep 1
	s_cbranch_execnz .LBB0_316
	s_branch .LBB0_318
.LBB0_315:                              ;   in Loop: Header=BB0_137 Depth=1
	s_branch .LBB0_318
.LBB0_316:                              ;   Parent Loop BB0_137 Depth=1
                                        ; =>  This Inner Loop Header: Depth=2
	v_mov_b32_e32 v1, 1
	s_and_saveexec_b32 s1, s0
	s_cbranch_execz .LBB0_313
; %bb.317:                              ;   in Loop: Header=BB0_316 Depth=2
	global_load_b32 v1, v[22:23], off offset:20 scope:SCOPE_SYS
	s_wait_loadcnt 0x0
	global_inv scope:SCOPE_SYS
	v_and_b32_e32 v1, 1, v1
	s_branch .LBB0_313
.LBB0_318:                              ;   in Loop: Header=BB0_137 Depth=1
	global_load_b64 v[22:23], v[8:9], off
	s_wait_xcnt 0x0
	s_and_saveexec_b32 s34, s0
	s_cbranch_execz .LBB0_322
; %bb.319:                              ;   in Loop: Header=BB0_137 Depth=1
	s_clause 0x2
	global_load_b64 v[8:9], v3, s[16:17] offset:40
	global_load_b64 v[26:27], v3, s[16:17] offset:24 scope:SCOPE_SYS
	global_load_b64 v[18:19], v3, s[16:17]
	s_wait_loadcnt 0x2
	v_readfirstlane_b32 s36, v8
	v_readfirstlane_b32 s37, v9
	s_add_nc_u64 s[0:1], s[36:37], 1
	s_delay_alu instid0(SALU_CYCLE_1) | instskip(NEXT) | instid1(SALU_CYCLE_1)
	s_add_nc_u64 s[30:31], s[0:1], s[30:31]
	s_cmp_eq_u64 s[30:31], 0
	s_cselect_b32 s1, s1, s31
	s_cselect_b32 s0, s0, s30
	s_delay_alu instid0(SALU_CYCLE_1) | instskip(SKIP_1) | instid1(SALU_CYCLE_1)
	v_dual_mov_b32 v25, s1 :: v_dual_mov_b32 v24, s0
	s_and_b64 s[30:31], s[0:1], s[36:37]
	s_mul_u64 s[30:31], s[30:31], 24
	s_wait_loadcnt 0x0
	v_add_nc_u64_e32 v[8:9], s[30:31], v[18:19]
	global_store_b64 v[8:9], v[26:27], off
	global_wb scope:SCOPE_SYS
	s_wait_storecnt 0x0
	s_wait_xcnt 0x0
	global_atomic_cmpswap_b64 v[20:21], v3, v[24:27], s[16:17] offset:24 th:TH_ATOMIC_RETURN scope:SCOPE_SYS
	s_wait_loadcnt 0x0
	v_cmp_ne_u64_e32 vcc_lo, v[20:21], v[26:27]
	s_and_b32 exec_lo, exec_lo, vcc_lo
	s_cbranch_execz .LBB0_322
; %bb.320:                              ;   in Loop: Header=BB0_137 Depth=1
	s_mov_b32 s30, 0
.LBB0_321:                              ;   Parent Loop BB0_137 Depth=1
                                        ; =>  This Inner Loop Header: Depth=2
	v_dual_mov_b32 v18, s0 :: v_dual_mov_b32 v19, s1
	s_sleep 1
	global_store_b64 v[8:9], v[20:21], off
	global_wb scope:SCOPE_SYS
	s_wait_storecnt 0x0
	s_wait_xcnt 0x0
	global_atomic_cmpswap_b64 v[18:19], v3, v[18:21], s[16:17] offset:24 th:TH_ATOMIC_RETURN scope:SCOPE_SYS
	s_wait_loadcnt 0x0
	v_cmp_eq_u64_e32 vcc_lo, v[18:19], v[20:21]
	v_mov_b64_e32 v[20:21], v[18:19]
	s_or_b32 s30, vcc_lo, s30
	s_delay_alu instid0(SALU_CYCLE_1)
	s_and_not1_b32 exec_lo, exec_lo, s30
	s_cbranch_execnz .LBB0_321
.LBB0_322:                              ;   in Loop: Header=BB0_137 Depth=1
	s_or_b32 exec_lo, exec_lo, s34
	s_delay_alu instid0(SALU_CYCLE_1)
	s_and_b32 vcc_lo, exec_lo, s33
	s_cbranch_vccz .LBB0_401
; %bb.323:                              ;   in Loop: Header=BB0_137 Depth=1
	s_wait_loadcnt 0x0
	v_dual_mov_b32 v19, v23 :: v_dual_bitop2_b32 v8, 2, v22 bitop3:0x40
	v_and_b32_e32 v18, -3, v22
	s_mov_b64 s[30:31], 6
	s_mov_b64 s[34:35], s[26:27]
	s_branch .LBB0_325
.LBB0_324:                              ;   in Loop: Header=BB0_325 Depth=2
	s_or_b32 exec_lo, exec_lo, s40
	s_sub_nc_u64 s[30:31], s[30:31], s[36:37]
	s_add_nc_u64 s[34:35], s[34:35], s[36:37]
	s_cmp_lg_u64 s[30:31], 0
	s_cbranch_scc0 .LBB0_400
.LBB0_325:                              ;   Parent Loop BB0_137 Depth=1
                                        ; =>  This Loop Header: Depth=2
                                        ;       Child Loop BB0_328 Depth 3
                                        ;       Child Loop BB0_335 Depth 3
	;; [unrolled: 1-line block ×11, first 2 shown]
	v_min_u64 v[20:21], s[30:31], 56
	v_cmp_gt_u64_e64 s0, s[30:31], 7
	s_and_b32 vcc_lo, exec_lo, s0
	v_readfirstlane_b32 s36, v20
	v_readfirstlane_b32 s37, v21
	s_cbranch_vccnz .LBB0_330
; %bb.326:                              ;   in Loop: Header=BB0_325 Depth=2
	v_mov_b64_e32 v[20:21], 0
	s_cmp_eq_u64 s[30:31], 0
	s_cbranch_scc1 .LBB0_329
; %bb.327:                              ;   in Loop: Header=BB0_325 Depth=2
	s_mov_b64 s[0:1], 0
	s_mov_b64 s[38:39], 0
.LBB0_328:                              ;   Parent Loop BB0_137 Depth=1
                                        ;     Parent Loop BB0_325 Depth=2
                                        ; =>    This Inner Loop Header: Depth=3
	s_wait_xcnt 0x0
	s_add_nc_u64 s[40:41], s[34:35], s[38:39]
	s_add_nc_u64 s[38:39], s[38:39], 1
	global_load_u8 v1, v3, s[40:41]
	s_cmp_lg_u32 s36, s38
	s_wait_loadcnt 0x0
	v_and_b32_e32 v2, 0xffff, v1
	s_delay_alu instid0(VALU_DEP_1) | instskip(SKIP_1) | instid1(VALU_DEP_1)
	v_lshlrev_b64_e32 v[24:25], s0, v[2:3]
	s_add_nc_u64 s[0:1], s[0:1], 8
	v_or_b32_e32 v20, v24, v20
	s_delay_alu instid0(VALU_DEP_2)
	v_or_b32_e32 v21, v25, v21
	s_cbranch_scc1 .LBB0_328
.LBB0_329:                              ;   in Loop: Header=BB0_325 Depth=2
	s_mov_b64 s[0:1], s[34:35]
	s_mov_b32 s45, 0
	s_cbranch_execz .LBB0_331
	s_branch .LBB0_332
.LBB0_330:                              ;   in Loop: Header=BB0_325 Depth=2
	s_add_nc_u64 s[0:1], s[34:35], 8
	s_mov_b32 s45, 0
.LBB0_331:                              ;   in Loop: Header=BB0_325 Depth=2
	global_load_b64 v[20:21], v3, s[34:35]
	s_add_co_i32 s45, s36, -8
.LBB0_332:                              ;   in Loop: Header=BB0_325 Depth=2
	s_delay_alu instid0(SALU_CYCLE_1)
	s_cmp_gt_u32 s45, 7
	s_cbranch_scc1 .LBB0_337
; %bb.333:                              ;   in Loop: Header=BB0_325 Depth=2
	v_mov_b64_e32 v[24:25], 0
	s_cmp_eq_u32 s45, 0
	s_cbranch_scc1 .LBB0_336
; %bb.334:                              ;   in Loop: Header=BB0_325 Depth=2
	s_mov_b64 s[38:39], 0
	s_wait_xcnt 0x0
	s_mov_b64 s[40:41], 0
.LBB0_335:                              ;   Parent Loop BB0_137 Depth=1
                                        ;     Parent Loop BB0_325 Depth=2
                                        ; =>    This Inner Loop Header: Depth=3
	s_wait_xcnt 0x0
	s_add_nc_u64 s[46:47], s[0:1], s[40:41]
	s_add_nc_u64 s[40:41], s[40:41], 1
	global_load_u8 v1, v3, s[46:47]
	s_cmp_lg_u32 s45, s40
	s_wait_loadcnt 0x0
	v_and_b32_e32 v2, 0xffff, v1
	s_delay_alu instid0(VALU_DEP_1) | instskip(SKIP_1) | instid1(VALU_DEP_1)
	v_lshlrev_b64_e32 v[26:27], s38, v[2:3]
	s_add_nc_u64 s[38:39], s[38:39], 8
	v_or_b32_e32 v24, v26, v24
	s_delay_alu instid0(VALU_DEP_2)
	v_or_b32_e32 v25, v27, v25
	s_cbranch_scc1 .LBB0_335
.LBB0_336:                              ;   in Loop: Header=BB0_325 Depth=2
	s_wait_xcnt 0x0
	s_mov_b64 s[38:39], s[0:1]
	s_mov_b32 s46, 0
	s_cbranch_execz .LBB0_338
	s_branch .LBB0_339
.LBB0_337:                              ;   in Loop: Header=BB0_325 Depth=2
	s_add_nc_u64 s[38:39], s[0:1], 8
	s_wait_xcnt 0x0
                                        ; implicit-def: $vgpr24_vgpr25
	s_mov_b32 s46, 0
.LBB0_338:                              ;   in Loop: Header=BB0_325 Depth=2
	global_load_b64 v[24:25], v3, s[0:1]
	s_add_co_i32 s46, s45, -8
.LBB0_339:                              ;   in Loop: Header=BB0_325 Depth=2
	s_delay_alu instid0(SALU_CYCLE_1)
	s_cmp_gt_u32 s46, 7
	s_cbranch_scc1 .LBB0_344
; %bb.340:                              ;   in Loop: Header=BB0_325 Depth=2
	v_mov_b64_e32 v[26:27], 0
	s_cmp_eq_u32 s46, 0
	s_cbranch_scc1 .LBB0_343
; %bb.341:                              ;   in Loop: Header=BB0_325 Depth=2
	s_wait_xcnt 0x0
	s_mov_b64 s[0:1], 0
	s_mov_b64 s[40:41], 0
.LBB0_342:                              ;   Parent Loop BB0_137 Depth=1
                                        ;     Parent Loop BB0_325 Depth=2
                                        ; =>    This Inner Loop Header: Depth=3
	s_wait_xcnt 0x0
	s_add_nc_u64 s[48:49], s[38:39], s[40:41]
	s_add_nc_u64 s[40:41], s[40:41], 1
	global_load_u8 v1, v3, s[48:49]
	s_cmp_lg_u32 s46, s40
	s_wait_loadcnt 0x0
	v_and_b32_e32 v2, 0xffff, v1
	s_delay_alu instid0(VALU_DEP_1) | instskip(SKIP_1) | instid1(VALU_DEP_1)
	v_lshlrev_b64_e32 v[28:29], s0, v[2:3]
	s_add_nc_u64 s[0:1], s[0:1], 8
	v_or_b32_e32 v26, v28, v26
	s_delay_alu instid0(VALU_DEP_2)
	v_or_b32_e32 v27, v29, v27
	s_cbranch_scc1 .LBB0_342
.LBB0_343:                              ;   in Loop: Header=BB0_325 Depth=2
	s_wait_xcnt 0x0
	s_mov_b64 s[0:1], s[38:39]
	s_mov_b32 s45, 0
	s_cbranch_execz .LBB0_345
	s_branch .LBB0_346
.LBB0_344:                              ;   in Loop: Header=BB0_325 Depth=2
	s_wait_xcnt 0x0
	s_add_nc_u64 s[0:1], s[38:39], 8
	s_mov_b32 s45, 0
.LBB0_345:                              ;   in Loop: Header=BB0_325 Depth=2
	global_load_b64 v[26:27], v3, s[38:39]
	s_add_co_i32 s45, s46, -8
.LBB0_346:                              ;   in Loop: Header=BB0_325 Depth=2
	s_delay_alu instid0(SALU_CYCLE_1)
	s_cmp_gt_u32 s45, 7
	s_cbranch_scc1 .LBB0_351
; %bb.347:                              ;   in Loop: Header=BB0_325 Depth=2
	v_mov_b64_e32 v[28:29], 0
	s_cmp_eq_u32 s45, 0
	s_cbranch_scc1 .LBB0_350
; %bb.348:                              ;   in Loop: Header=BB0_325 Depth=2
	s_wait_xcnt 0x0
	s_mov_b64 s[38:39], 0
	s_mov_b64 s[40:41], 0
.LBB0_349:                              ;   Parent Loop BB0_137 Depth=1
                                        ;     Parent Loop BB0_325 Depth=2
                                        ; =>    This Inner Loop Header: Depth=3
	s_wait_xcnt 0x0
	s_add_nc_u64 s[46:47], s[0:1], s[40:41]
	s_add_nc_u64 s[40:41], s[40:41], 1
	global_load_u8 v1, v3, s[46:47]
	s_cmp_lg_u32 s45, s40
	s_wait_loadcnt 0x0
	v_and_b32_e32 v2, 0xffff, v1
	s_delay_alu instid0(VALU_DEP_1) | instskip(SKIP_1) | instid1(VALU_DEP_1)
	v_lshlrev_b64_e32 v[30:31], s38, v[2:3]
	s_add_nc_u64 s[38:39], s[38:39], 8
	v_or_b32_e32 v28, v30, v28
	s_delay_alu instid0(VALU_DEP_2)
	v_or_b32_e32 v29, v31, v29
	s_cbranch_scc1 .LBB0_349
.LBB0_350:                              ;   in Loop: Header=BB0_325 Depth=2
	s_wait_xcnt 0x0
	s_mov_b64 s[38:39], s[0:1]
	s_mov_b32 s46, 0
	s_cbranch_execz .LBB0_352
	s_branch .LBB0_353
.LBB0_351:                              ;   in Loop: Header=BB0_325 Depth=2
	s_wait_xcnt 0x0
	s_add_nc_u64 s[38:39], s[0:1], 8
                                        ; implicit-def: $vgpr28_vgpr29
	s_mov_b32 s46, 0
.LBB0_352:                              ;   in Loop: Header=BB0_325 Depth=2
	global_load_b64 v[28:29], v3, s[0:1]
	s_add_co_i32 s46, s45, -8
.LBB0_353:                              ;   in Loop: Header=BB0_325 Depth=2
	s_delay_alu instid0(SALU_CYCLE_1)
	s_cmp_gt_u32 s46, 7
	s_cbranch_scc1 .LBB0_358
; %bb.354:                              ;   in Loop: Header=BB0_325 Depth=2
	v_mov_b64_e32 v[30:31], 0
	s_cmp_eq_u32 s46, 0
	s_cbranch_scc1 .LBB0_357
; %bb.355:                              ;   in Loop: Header=BB0_325 Depth=2
	s_wait_xcnt 0x0
	s_mov_b64 s[0:1], 0
	s_mov_b64 s[40:41], 0
.LBB0_356:                              ;   Parent Loop BB0_137 Depth=1
                                        ;     Parent Loop BB0_325 Depth=2
                                        ; =>    This Inner Loop Header: Depth=3
	s_wait_xcnt 0x0
	s_add_nc_u64 s[48:49], s[38:39], s[40:41]
	s_add_nc_u64 s[40:41], s[40:41], 1
	global_load_u8 v1, v3, s[48:49]
	s_cmp_lg_u32 s46, s40
	s_wait_loadcnt 0x0
	v_and_b32_e32 v2, 0xffff, v1
	s_delay_alu instid0(VALU_DEP_1) | instskip(SKIP_1) | instid1(VALU_DEP_1)
	v_lshlrev_b64_e32 v[32:33], s0, v[2:3]
	s_add_nc_u64 s[0:1], s[0:1], 8
	v_or_b32_e32 v30, v32, v30
	s_delay_alu instid0(VALU_DEP_2)
	v_or_b32_e32 v31, v33, v31
	s_cbranch_scc1 .LBB0_356
.LBB0_357:                              ;   in Loop: Header=BB0_325 Depth=2
	s_wait_xcnt 0x0
	s_mov_b64 s[0:1], s[38:39]
	s_mov_b32 s45, 0
	s_cbranch_execz .LBB0_359
	s_branch .LBB0_360
.LBB0_358:                              ;   in Loop: Header=BB0_325 Depth=2
	s_wait_xcnt 0x0
	s_add_nc_u64 s[0:1], s[38:39], 8
	s_mov_b32 s45, 0
.LBB0_359:                              ;   in Loop: Header=BB0_325 Depth=2
	global_load_b64 v[30:31], v3, s[38:39]
	s_add_co_i32 s45, s46, -8
.LBB0_360:                              ;   in Loop: Header=BB0_325 Depth=2
	s_delay_alu instid0(SALU_CYCLE_1)
	s_cmp_gt_u32 s45, 7
	s_cbranch_scc1 .LBB0_365
; %bb.361:                              ;   in Loop: Header=BB0_325 Depth=2
	v_mov_b64_e32 v[32:33], 0
	s_cmp_eq_u32 s45, 0
	s_cbranch_scc1 .LBB0_364
; %bb.362:                              ;   in Loop: Header=BB0_325 Depth=2
	s_wait_xcnt 0x0
	s_mov_b64 s[38:39], 0
	s_mov_b64 s[40:41], 0
.LBB0_363:                              ;   Parent Loop BB0_137 Depth=1
                                        ;     Parent Loop BB0_325 Depth=2
                                        ; =>    This Inner Loop Header: Depth=3
	s_wait_xcnt 0x0
	s_add_nc_u64 s[46:47], s[0:1], s[40:41]
	s_add_nc_u64 s[40:41], s[40:41], 1
	global_load_u8 v1, v3, s[46:47]
	s_cmp_lg_u32 s45, s40
	s_wait_loadcnt 0x0
	v_and_b32_e32 v2, 0xffff, v1
	s_delay_alu instid0(VALU_DEP_1) | instskip(SKIP_1) | instid1(VALU_DEP_1)
	v_lshlrev_b64_e32 v[34:35], s38, v[2:3]
	s_add_nc_u64 s[38:39], s[38:39], 8
	v_or_b32_e32 v32, v34, v32
	s_delay_alu instid0(VALU_DEP_2)
	v_or_b32_e32 v33, v35, v33
	s_cbranch_scc1 .LBB0_363
.LBB0_364:                              ;   in Loop: Header=BB0_325 Depth=2
	s_wait_xcnt 0x0
	s_mov_b64 s[38:39], s[0:1]
	s_mov_b32 s46, 0
	s_cbranch_execz .LBB0_366
	s_branch .LBB0_367
.LBB0_365:                              ;   in Loop: Header=BB0_325 Depth=2
	s_wait_xcnt 0x0
	s_add_nc_u64 s[38:39], s[0:1], 8
                                        ; implicit-def: $vgpr32_vgpr33
	s_mov_b32 s46, 0
.LBB0_366:                              ;   in Loop: Header=BB0_325 Depth=2
	global_load_b64 v[32:33], v3, s[0:1]
	s_add_co_i32 s46, s45, -8
.LBB0_367:                              ;   in Loop: Header=BB0_325 Depth=2
	s_delay_alu instid0(SALU_CYCLE_1)
	s_cmp_gt_u32 s46, 7
	s_cbranch_scc1 .LBB0_372
; %bb.368:                              ;   in Loop: Header=BB0_325 Depth=2
	v_mov_b64_e32 v[34:35], 0
	s_cmp_eq_u32 s46, 0
	s_cbranch_scc1 .LBB0_371
; %bb.369:                              ;   in Loop: Header=BB0_325 Depth=2
	s_wait_xcnt 0x0
	s_mov_b64 s[0:1], 0
	s_mov_b64 s[40:41], s[38:39]
.LBB0_370:                              ;   Parent Loop BB0_137 Depth=1
                                        ;     Parent Loop BB0_325 Depth=2
                                        ; =>    This Inner Loop Header: Depth=3
	global_load_u8 v1, v3, s[40:41]
	s_add_co_i32 s46, s46, -1
	s_wait_xcnt 0x0
	s_add_nc_u64 s[40:41], s[40:41], 1
	s_cmp_lg_u32 s46, 0
	s_wait_loadcnt 0x0
	v_and_b32_e32 v2, 0xffff, v1
	s_delay_alu instid0(VALU_DEP_1) | instskip(SKIP_1) | instid1(VALU_DEP_1)
	v_lshlrev_b64_e32 v[36:37], s0, v[2:3]
	s_add_nc_u64 s[0:1], s[0:1], 8
	v_or_b32_e32 v34, v36, v34
	s_delay_alu instid0(VALU_DEP_2)
	v_or_b32_e32 v35, v37, v35
	s_cbranch_scc1 .LBB0_370
.LBB0_371:                              ;   in Loop: Header=BB0_325 Depth=2
	s_wait_xcnt 0x0
	s_cbranch_execz .LBB0_373
	s_branch .LBB0_374
.LBB0_372:                              ;   in Loop: Header=BB0_325 Depth=2
	s_wait_xcnt 0x0
.LBB0_373:                              ;   in Loop: Header=BB0_325 Depth=2
	global_load_b64 v[34:35], v3, s[38:39]
.LBB0_374:                              ;   in Loop: Header=BB0_325 Depth=2
	v_readfirstlane_b32 s0, v46
	v_mov_b64_e32 v[42:43], 0
	s_delay_alu instid0(VALU_DEP_2)
	v_cmp_eq_u32_e64 s0, s0, v46
	s_wait_xcnt 0x0
	s_and_saveexec_b32 s1, s0
	s_cbranch_execz .LBB0_380
; %bb.375:                              ;   in Loop: Header=BB0_325 Depth=2
	global_load_b64 v[38:39], v3, s[16:17] offset:24 scope:SCOPE_SYS
	s_wait_loadcnt 0x0
	global_inv scope:SCOPE_SYS
	s_clause 0x1
	global_load_b64 v[36:37], v3, s[16:17] offset:40
	global_load_b64 v[42:43], v3, s[16:17]
	s_mov_b32 s38, exec_lo
	s_wait_loadcnt 0x1
	v_and_b32_e32 v36, v36, v38
	v_and_b32_e32 v37, v37, v39
	s_delay_alu instid0(VALU_DEP_1) | instskip(SKIP_1) | instid1(VALU_DEP_1)
	v_mul_u64_e32 v[36:37], 24, v[36:37]
	s_wait_loadcnt 0x0
	v_add_nc_u64_e32 v[36:37], v[42:43], v[36:37]
	global_load_b64 v[36:37], v[36:37], off scope:SCOPE_SYS
	s_wait_xcnt 0x0
	s_wait_loadcnt 0x0
	global_atomic_cmpswap_b64 v[42:43], v3, v[36:39], s[16:17] offset:24 th:TH_ATOMIC_RETURN scope:SCOPE_SYS
	s_wait_loadcnt 0x0
	global_inv scope:SCOPE_SYS
	s_wait_xcnt 0x0
	v_cmpx_ne_u64_e64 v[42:43], v[38:39]
	s_cbranch_execz .LBB0_379
; %bb.376:                              ;   in Loop: Header=BB0_325 Depth=2
	s_mov_b32 s39, 0
.LBB0_377:                              ;   Parent Loop BB0_137 Depth=1
                                        ;     Parent Loop BB0_325 Depth=2
                                        ; =>    This Inner Loop Header: Depth=3
	s_sleep 1
	s_clause 0x1
	global_load_b64 v[36:37], v3, s[16:17] offset:40
	global_load_b64 v[44:45], v3, s[16:17]
	v_mov_b64_e32 v[38:39], v[42:43]
	s_wait_loadcnt 0x1
	s_delay_alu instid0(VALU_DEP_1) | instskip(SKIP_1) | instid1(VALU_DEP_1)
	v_and_b32_e32 v1, v36, v38
	s_wait_loadcnt 0x0
	v_mad_nc_u64_u32 v[42:43], v1, 24, v[44:45]
	s_delay_alu instid0(VALU_DEP_3) | instskip(NEXT) | instid1(VALU_DEP_1)
	v_and_b32_e32 v1, v37, v39
	v_mad_u32 v43, v1, 24, v43
	global_load_b64 v[36:37], v[42:43], off scope:SCOPE_SYS
	s_wait_xcnt 0x0
	s_wait_loadcnt 0x0
	global_atomic_cmpswap_b64 v[42:43], v3, v[36:39], s[16:17] offset:24 th:TH_ATOMIC_RETURN scope:SCOPE_SYS
	s_wait_loadcnt 0x0
	global_inv scope:SCOPE_SYS
	v_cmp_eq_u64_e32 vcc_lo, v[42:43], v[38:39]
	s_or_b32 s39, vcc_lo, s39
	s_wait_xcnt 0x0
	s_and_not1_b32 exec_lo, exec_lo, s39
	s_cbranch_execnz .LBB0_377
; %bb.378:                              ;   in Loop: Header=BB0_325 Depth=2
	s_or_b32 exec_lo, exec_lo, s39
.LBB0_379:                              ;   in Loop: Header=BB0_325 Depth=2
	s_delay_alu instid0(SALU_CYCLE_1)
	s_or_b32 exec_lo, exec_lo, s38
.LBB0_380:                              ;   in Loop: Header=BB0_325 Depth=2
	s_delay_alu instid0(SALU_CYCLE_1)
	s_or_b32 exec_lo, exec_lo, s1
	s_clause 0x1
	global_load_b64 v[44:45], v3, s[16:17] offset:40
	global_load_b128 v[36:39], v3, s[16:17]
	v_readfirstlane_b32 s38, v42
	v_readfirstlane_b32 s39, v43
	s_mov_b32 s1, exec_lo
	s_wait_loadcnt 0x1
	v_and_b32_e32 v44, s38, v44
	v_and_b32_e32 v45, s39, v45
	s_delay_alu instid0(VALU_DEP_1) | instskip(SKIP_1) | instid1(VALU_DEP_1)
	v_mul_u64_e32 v[42:43], 24, v[44:45]
	s_wait_loadcnt 0x0
	v_add_nc_u64_e32 v[42:43], v[36:37], v[42:43]
	s_wait_xcnt 0x0
	s_and_saveexec_b32 s40, s0
	s_cbranch_execz .LBB0_382
; %bb.381:                              ;   in Loop: Header=BB0_325 Depth=2
	v_mov_b32_e32 v2, s1
	global_store_b128 v[42:43], v[2:5], off offset:8
.LBB0_382:                              ;   in Loop: Header=BB0_325 Depth=2
	s_wait_xcnt 0x0
	s_or_b32 exec_lo, exec_lo, s40
	v_cmp_lt_u64_e64 vcc_lo, s[30:31], 57
	v_lshlrev_b64_e32 v[44:45], 12, v[44:45]
	v_and_b32_e32 v2, 0xffffff1f, v18
	s_lshl_b32 s1, s36, 2
	s_delay_alu instid0(SALU_CYCLE_1) | instskip(SKIP_1) | instid1(VALU_DEP_3)
	s_add_co_i32 s1, s1, 28
	v_cndmask_b32_e32 v1, 0, v8, vcc_lo
	v_add_nc_u64_e32 v[38:39], v[38:39], v[44:45]
	s_delay_alu instid0(VALU_DEP_2) | instskip(NEXT) | instid1(VALU_DEP_2)
	v_or_b32_e32 v1, v2, v1
	v_readfirstlane_b32 s40, v38
	s_delay_alu instid0(VALU_DEP_3) | instskip(NEXT) | instid1(VALU_DEP_3)
	v_readfirstlane_b32 s41, v39
	v_and_or_b32 v18, 0x1e0, s1, v1
	s_clause 0x3
	global_store_b128 v0, v[18:21], s[40:41]
	global_store_b128 v0, v[24:27], s[40:41] offset:16
	global_store_b128 v0, v[28:31], s[40:41] offset:32
	;; [unrolled: 1-line block ×3, first 2 shown]
	s_wait_xcnt 0x0
	s_and_saveexec_b32 s1, s0
	s_cbranch_execz .LBB0_390
; %bb.383:                              ;   in Loop: Header=BB0_325 Depth=2
	s_clause 0x1
	global_load_b64 v[28:29], v3, s[16:17] offset:32 scope:SCOPE_SYS
	global_load_b64 v[18:19], v3, s[16:17] offset:40
	s_mov_b32 s40, exec_lo
	v_dual_mov_b32 v26, s38 :: v_dual_mov_b32 v27, s39
	s_wait_loadcnt 0x0
	v_and_b32_e32 v19, s39, v19
	v_and_b32_e32 v18, s38, v18
	s_delay_alu instid0(VALU_DEP_1) | instskip(NEXT) | instid1(VALU_DEP_1)
	v_mul_u64_e32 v[18:19], 24, v[18:19]
	v_add_nc_u64_e32 v[24:25], v[36:37], v[18:19]
	global_store_b64 v[24:25], v[28:29], off
	global_wb scope:SCOPE_SYS
	s_wait_storecnt 0x0
	s_wait_xcnt 0x0
	global_atomic_cmpswap_b64 v[20:21], v3, v[26:29], s[16:17] offset:32 th:TH_ATOMIC_RETURN scope:SCOPE_SYS
	s_wait_loadcnt 0x0
	v_cmpx_ne_u64_e64 v[20:21], v[28:29]
	s_cbranch_execz .LBB0_386
; %bb.384:                              ;   in Loop: Header=BB0_325 Depth=2
	s_mov_b32 s41, 0
.LBB0_385:                              ;   Parent Loop BB0_137 Depth=1
                                        ;     Parent Loop BB0_325 Depth=2
                                        ; =>    This Inner Loop Header: Depth=3
	v_dual_mov_b32 v18, s38 :: v_dual_mov_b32 v19, s39
	s_sleep 1
	global_store_b64 v[24:25], v[20:21], off
	global_wb scope:SCOPE_SYS
	s_wait_storecnt 0x0
	s_wait_xcnt 0x0
	global_atomic_cmpswap_b64 v[18:19], v3, v[18:21], s[16:17] offset:32 th:TH_ATOMIC_RETURN scope:SCOPE_SYS
	s_wait_loadcnt 0x0
	v_cmp_eq_u64_e32 vcc_lo, v[18:19], v[20:21]
	v_mov_b64_e32 v[20:21], v[18:19]
	s_or_b32 s41, vcc_lo, s41
	s_delay_alu instid0(SALU_CYCLE_1)
	s_and_not1_b32 exec_lo, exec_lo, s41
	s_cbranch_execnz .LBB0_385
.LBB0_386:                              ;   in Loop: Header=BB0_325 Depth=2
	s_or_b32 exec_lo, exec_lo, s40
	global_load_b64 v[18:19], v3, s[16:17] offset:16
	s_mov_b32 s41, exec_lo
	s_mov_b32 s40, exec_lo
	v_mbcnt_lo_u32_b32 v1, s41, 0
	s_wait_xcnt 0x0
	s_delay_alu instid0(VALU_DEP_1)
	v_cmpx_eq_u32_e32 0, v1
	s_cbranch_execz .LBB0_388
; %bb.387:                              ;   in Loop: Header=BB0_325 Depth=2
	s_bcnt1_i32_b32 s41, s41
	s_delay_alu instid0(SALU_CYCLE_1)
	v_mov_b32_e32 v2, s41
	global_wb scope:SCOPE_SYS
	s_wait_loadcnt 0x0
	s_wait_storecnt 0x0
	global_atomic_add_u64 v[18:19], v[2:3], off offset:8 scope:SCOPE_SYS
.LBB0_388:                              ;   in Loop: Header=BB0_325 Depth=2
	s_wait_xcnt 0x0
	s_or_b32 exec_lo, exec_lo, s40
	s_wait_loadcnt 0x0
	global_load_b64 v[20:21], v[18:19], off offset:16
	s_wait_loadcnt 0x0
	v_cmp_eq_u64_e32 vcc_lo, 0, v[20:21]
	s_cbranch_vccnz .LBB0_390
; %bb.389:                              ;   in Loop: Header=BB0_325 Depth=2
	global_load_b32 v2, v[18:19], off offset:24
	s_wait_loadcnt 0x0
	v_readfirstlane_b32 s40, v2
	global_wb scope:SCOPE_SYS
	s_wait_storecnt 0x0
	s_wait_xcnt 0x0
	global_store_b64 v[20:21], v[2:3], off scope:SCOPE_SYS
	s_and_b32 m0, s40, 0xffffff
	s_sendmsg sendmsg(MSG_INTERRUPT)
.LBB0_390:                              ;   in Loop: Header=BB0_325 Depth=2
	s_wait_xcnt 0x0
	s_or_b32 exec_lo, exec_lo, s1
	v_mov_b32_e32 v1, v3
	s_delay_alu instid0(VALU_DEP_1)
	v_add_nc_u64_e32 v[18:19], v[38:39], v[0:1]
	s_branch .LBB0_394
.LBB0_391:                              ;   in Loop: Header=BB0_394 Depth=3
	s_wait_xcnt 0x0
	s_or_b32 exec_lo, exec_lo, s1
	s_delay_alu instid0(VALU_DEP_1)
	v_readfirstlane_b32 s1, v1
	s_cmp_eq_u32 s1, 0
	s_cbranch_scc1 .LBB0_393
; %bb.392:                              ;   in Loop: Header=BB0_394 Depth=3
	s_sleep 1
	s_cbranch_execnz .LBB0_394
	s_branch .LBB0_396
.LBB0_393:                              ;   in Loop: Header=BB0_325 Depth=2
	s_branch .LBB0_396
.LBB0_394:                              ;   Parent Loop BB0_137 Depth=1
                                        ;     Parent Loop BB0_325 Depth=2
                                        ; =>    This Inner Loop Header: Depth=3
	v_mov_b32_e32 v1, 1
	s_and_saveexec_b32 s1, s0
	s_cbranch_execz .LBB0_391
; %bb.395:                              ;   in Loop: Header=BB0_394 Depth=3
	global_load_b32 v1, v[42:43], off offset:20 scope:SCOPE_SYS
	s_wait_loadcnt 0x0
	global_inv scope:SCOPE_SYS
	v_and_b32_e32 v1, 1, v1
	s_branch .LBB0_391
.LBB0_396:                              ;   in Loop: Header=BB0_325 Depth=2
	global_load_b64 v[18:19], v[18:19], off
	s_wait_xcnt 0x0
	s_and_saveexec_b32 s40, s0
	s_cbranch_execz .LBB0_324
; %bb.397:                              ;   in Loop: Header=BB0_325 Depth=2
	s_clause 0x2
	global_load_b64 v[20:21], v3, s[16:17] offset:40
	global_load_b64 v[28:29], v3, s[16:17] offset:24 scope:SCOPE_SYS
	global_load_b64 v[24:25], v3, s[16:17]
	s_wait_loadcnt 0x2
	v_readfirstlane_b32 s46, v20
	v_readfirstlane_b32 s47, v21
	s_add_nc_u64 s[0:1], s[46:47], 1
	s_delay_alu instid0(SALU_CYCLE_1) | instskip(NEXT) | instid1(SALU_CYCLE_1)
	s_add_nc_u64 s[38:39], s[0:1], s[38:39]
	s_cmp_eq_u64 s[38:39], 0
	s_cselect_b32 s1, s1, s39
	s_cselect_b32 s0, s0, s38
	s_delay_alu instid0(SALU_CYCLE_1) | instskip(SKIP_1) | instid1(SALU_CYCLE_1)
	v_dual_mov_b32 v27, s1 :: v_dual_mov_b32 v26, s0
	s_and_b64 s[38:39], s[0:1], s[46:47]
	s_mul_u64 s[38:39], s[38:39], 24
	s_wait_loadcnt 0x0
	v_add_nc_u64_e32 v[20:21], s[38:39], v[24:25]
	global_store_b64 v[20:21], v[28:29], off
	global_wb scope:SCOPE_SYS
	s_wait_storecnt 0x0
	s_wait_xcnt 0x0
	global_atomic_cmpswap_b64 v[26:27], v3, v[26:29], s[16:17] offset:24 th:TH_ATOMIC_RETURN scope:SCOPE_SYS
	s_wait_loadcnt 0x0
	v_cmp_ne_u64_e32 vcc_lo, v[26:27], v[28:29]
	s_and_b32 exec_lo, exec_lo, vcc_lo
	s_cbranch_execz .LBB0_324
; %bb.398:                              ;   in Loop: Header=BB0_325 Depth=2
	s_mov_b32 s38, 0
.LBB0_399:                              ;   Parent Loop BB0_137 Depth=1
                                        ;     Parent Loop BB0_325 Depth=2
                                        ; =>    This Inner Loop Header: Depth=3
	v_dual_mov_b32 v24, s0 :: v_dual_mov_b32 v25, s1
	s_sleep 1
	global_store_b64 v[20:21], v[26:27], off
	global_wb scope:SCOPE_SYS
	s_wait_storecnt 0x0
	s_wait_xcnt 0x0
	global_atomic_cmpswap_b64 v[24:25], v3, v[24:27], s[16:17] offset:24 th:TH_ATOMIC_RETURN scope:SCOPE_SYS
	s_wait_loadcnt 0x0
	v_cmp_eq_u64_e32 vcc_lo, v[24:25], v[26:27]
	v_mov_b64_e32 v[26:27], v[24:25]
	s_or_b32 s38, vcc_lo, s38
	s_delay_alu instid0(SALU_CYCLE_1)
	s_and_not1_b32 exec_lo, exec_lo, s38
	s_cbranch_execnz .LBB0_399
	s_branch .LBB0_324
.LBB0_400:                              ;   in Loop: Header=BB0_137 Depth=1
	s_branch .LBB0_429
.LBB0_401:                              ;   in Loop: Header=BB0_137 Depth=1
                                        ; implicit-def: $vgpr18_vgpr19
	s_cbranch_execz .LBB0_429
; %bb.402:                              ;   in Loop: Header=BB0_137 Depth=1
	v_readfirstlane_b32 s0, v46
	v_mov_b64_e32 v[8:9], 0
	s_delay_alu instid0(VALU_DEP_2)
	v_cmp_eq_u32_e64 s0, s0, v46
	s_and_saveexec_b32 s1, s0
	s_cbranch_execz .LBB0_408
; %bb.403:                              ;   in Loop: Header=BB0_137 Depth=1
	global_load_b64 v[20:21], v3, s[16:17] offset:24 scope:SCOPE_SYS
	s_wait_loadcnt 0x0
	global_inv scope:SCOPE_SYS
	s_clause 0x1
	global_load_b64 v[8:9], v3, s[16:17] offset:40
	global_load_b64 v[18:19], v3, s[16:17]
	s_mov_b32 s30, exec_lo
	s_wait_loadcnt 0x1
	v_and_b32_e32 v8, v8, v20
	v_and_b32_e32 v9, v9, v21
	s_delay_alu instid0(VALU_DEP_1) | instskip(SKIP_1) | instid1(VALU_DEP_1)
	v_mul_u64_e32 v[8:9], 24, v[8:9]
	s_wait_loadcnt 0x0
	v_add_nc_u64_e32 v[8:9], v[18:19], v[8:9]
	global_load_b64 v[18:19], v[8:9], off scope:SCOPE_SYS
	s_wait_xcnt 0x0
	s_wait_loadcnt 0x0
	global_atomic_cmpswap_b64 v[8:9], v3, v[18:21], s[16:17] offset:24 th:TH_ATOMIC_RETURN scope:SCOPE_SYS
	s_wait_loadcnt 0x0
	global_inv scope:SCOPE_SYS
	s_wait_xcnt 0x0
	v_cmpx_ne_u64_e64 v[8:9], v[20:21]
	s_cbranch_execz .LBB0_407
; %bb.404:                              ;   in Loop: Header=BB0_137 Depth=1
	s_mov_b32 s31, 0
.LBB0_405:                              ;   Parent Loop BB0_137 Depth=1
                                        ; =>  This Inner Loop Header: Depth=2
	s_sleep 1
	s_clause 0x1
	global_load_b64 v[18:19], v3, s[16:17] offset:40
	global_load_b64 v[24:25], v3, s[16:17]
	v_mov_b64_e32 v[20:21], v[8:9]
	s_wait_loadcnt 0x1
	s_delay_alu instid0(VALU_DEP_1) | instskip(SKIP_1) | instid1(VALU_DEP_1)
	v_and_b32_e32 v1, v18, v20
	s_wait_loadcnt 0x0
	v_mad_nc_u64_u32 v[8:9], v1, 24, v[24:25]
	s_delay_alu instid0(VALU_DEP_3) | instskip(NEXT) | instid1(VALU_DEP_1)
	v_and_b32_e32 v1, v19, v21
	v_mad_u32 v9, v1, 24, v9
	global_load_b64 v[18:19], v[8:9], off scope:SCOPE_SYS
	s_wait_xcnt 0x0
	s_wait_loadcnt 0x0
	global_atomic_cmpswap_b64 v[8:9], v3, v[18:21], s[16:17] offset:24 th:TH_ATOMIC_RETURN scope:SCOPE_SYS
	s_wait_loadcnt 0x0
	global_inv scope:SCOPE_SYS
	v_cmp_eq_u64_e32 vcc_lo, v[8:9], v[20:21]
	s_or_b32 s31, vcc_lo, s31
	s_wait_xcnt 0x0
	s_and_not1_b32 exec_lo, exec_lo, s31
	s_cbranch_execnz .LBB0_405
; %bb.406:                              ;   in Loop: Header=BB0_137 Depth=1
	s_or_b32 exec_lo, exec_lo, s31
.LBB0_407:                              ;   in Loop: Header=BB0_137 Depth=1
	s_delay_alu instid0(SALU_CYCLE_1)
	s_or_b32 exec_lo, exec_lo, s30
.LBB0_408:                              ;   in Loop: Header=BB0_137 Depth=1
	s_delay_alu instid0(SALU_CYCLE_1)
	s_or_b32 exec_lo, exec_lo, s1
	global_load_b64 v[24:25], v3, s[16:17] offset:40
	s_wait_loadcnt 0x1
	global_load_b128 v[18:21], v3, s[16:17]
	v_readfirstlane_b32 s30, v8
	v_readfirstlane_b32 s31, v9
	s_mov_b32 s1, exec_lo
	s_wait_loadcnt 0x1
	v_and_b32_e32 v24, s30, v24
	v_and_b32_e32 v25, s31, v25
	s_delay_alu instid0(VALU_DEP_1) | instskip(SKIP_1) | instid1(VALU_DEP_1)
	v_mul_u64_e32 v[8:9], 24, v[24:25]
	s_wait_loadcnt 0x0
	v_add_nc_u64_e32 v[8:9], v[18:19], v[8:9]
	s_wait_xcnt 0x0
	s_and_saveexec_b32 s34, s0
	s_cbranch_execz .LBB0_410
; %bb.409:                              ;   in Loop: Header=BB0_137 Depth=1
	v_mov_b32_e32 v2, s1
	global_store_b128 v[8:9], v[2:5], off offset:8
.LBB0_410:                              ;   in Loop: Header=BB0_137 Depth=1
	s_wait_xcnt 0x0
	s_or_b32 exec_lo, exec_lo, s34
	v_lshlrev_b64_e32 v[24:25], 12, v[24:25]
	v_mov_b64_e32 v[30:31], s[10:11]
	v_mov_b64_e32 v[28:29], s[8:9]
	v_and_or_b32 v22, 0xffffff1f, v22, 32
	s_delay_alu instid0(VALU_DEP_4) | instskip(SKIP_1) | instid1(VALU_DEP_2)
	v_add_nc_u64_e32 v[26:27], v[20:21], v[24:25]
	v_dual_mov_b32 v24, v3 :: v_dual_mov_b32 v25, v3
	v_readfirstlane_b32 s34, v26
	s_delay_alu instid0(VALU_DEP_3)
	v_readfirstlane_b32 s35, v27
	s_clause 0x3
	global_store_b128 v0, v[22:25], s[34:35]
	global_store_b128 v0, v[28:31], s[34:35] offset:16
	global_store_b128 v0, v[28:31], s[34:35] offset:32
	;; [unrolled: 1-line block ×3, first 2 shown]
	s_wait_xcnt 0x0
	s_and_saveexec_b32 s1, s0
	s_cbranch_execz .LBB0_418
; %bb.411:                              ;   in Loop: Header=BB0_137 Depth=1
	s_clause 0x1
	global_load_b64 v[30:31], v3, s[16:17] offset:32 scope:SCOPE_SYS
	global_load_b64 v[20:21], v3, s[16:17] offset:40
	s_mov_b32 s34, exec_lo
	v_dual_mov_b32 v28, s30 :: v_dual_mov_b32 v29, s31
	s_wait_loadcnt 0x0
	v_and_b32_e32 v21, s31, v21
	v_and_b32_e32 v20, s30, v20
	s_delay_alu instid0(VALU_DEP_1) | instskip(NEXT) | instid1(VALU_DEP_1)
	v_mul_u64_e32 v[20:21], 24, v[20:21]
	v_add_nc_u64_e32 v[22:23], v[18:19], v[20:21]
	global_store_b64 v[22:23], v[30:31], off
	global_wb scope:SCOPE_SYS
	s_wait_storecnt 0x0
	s_wait_xcnt 0x0
	global_atomic_cmpswap_b64 v[20:21], v3, v[28:31], s[16:17] offset:32 th:TH_ATOMIC_RETURN scope:SCOPE_SYS
	s_wait_loadcnt 0x0
	v_cmpx_ne_u64_e64 v[20:21], v[30:31]
	s_cbranch_execz .LBB0_414
; %bb.412:                              ;   in Loop: Header=BB0_137 Depth=1
	s_mov_b32 s35, 0
.LBB0_413:                              ;   Parent Loop BB0_137 Depth=1
                                        ; =>  This Inner Loop Header: Depth=2
	v_dual_mov_b32 v18, s30 :: v_dual_mov_b32 v19, s31
	s_sleep 1
	global_store_b64 v[22:23], v[20:21], off
	global_wb scope:SCOPE_SYS
	s_wait_storecnt 0x0
	s_wait_xcnt 0x0
	global_atomic_cmpswap_b64 v[18:19], v3, v[18:21], s[16:17] offset:32 th:TH_ATOMIC_RETURN scope:SCOPE_SYS
	s_wait_loadcnt 0x0
	v_cmp_eq_u64_e32 vcc_lo, v[18:19], v[20:21]
	v_mov_b64_e32 v[20:21], v[18:19]
	s_or_b32 s35, vcc_lo, s35
	s_delay_alu instid0(SALU_CYCLE_1)
	s_and_not1_b32 exec_lo, exec_lo, s35
	s_cbranch_execnz .LBB0_413
.LBB0_414:                              ;   in Loop: Header=BB0_137 Depth=1
	s_or_b32 exec_lo, exec_lo, s34
	global_load_b64 v[18:19], v3, s[16:17] offset:16
	s_mov_b32 s35, exec_lo
	s_mov_b32 s34, exec_lo
	v_mbcnt_lo_u32_b32 v1, s35, 0
	s_wait_xcnt 0x0
	s_delay_alu instid0(VALU_DEP_1)
	v_cmpx_eq_u32_e32 0, v1
	s_cbranch_execz .LBB0_416
; %bb.415:                              ;   in Loop: Header=BB0_137 Depth=1
	s_bcnt1_i32_b32 s35, s35
	s_delay_alu instid0(SALU_CYCLE_1)
	v_mov_b32_e32 v2, s35
	global_wb scope:SCOPE_SYS
	s_wait_loadcnt 0x0
	s_wait_storecnt 0x0
	global_atomic_add_u64 v[18:19], v[2:3], off offset:8 scope:SCOPE_SYS
.LBB0_416:                              ;   in Loop: Header=BB0_137 Depth=1
	s_wait_xcnt 0x0
	s_or_b32 exec_lo, exec_lo, s34
	s_wait_loadcnt 0x0
	global_load_b64 v[20:21], v[18:19], off offset:16
	s_wait_loadcnt 0x0
	v_cmp_eq_u64_e32 vcc_lo, 0, v[20:21]
	s_cbranch_vccnz .LBB0_418
; %bb.417:                              ;   in Loop: Header=BB0_137 Depth=1
	global_load_b32 v2, v[18:19], off offset:24
	s_wait_loadcnt 0x0
	v_readfirstlane_b32 s34, v2
	global_wb scope:SCOPE_SYS
	s_wait_storecnt 0x0
	s_wait_xcnt 0x0
	global_store_b64 v[20:21], v[2:3], off scope:SCOPE_SYS
	s_and_b32 m0, s34, 0xffffff
	s_sendmsg sendmsg(MSG_INTERRUPT)
.LBB0_418:                              ;   in Loop: Header=BB0_137 Depth=1
	s_wait_xcnt 0x0
	s_or_b32 exec_lo, exec_lo, s1
	v_mov_b32_e32 v1, v3
	s_delay_alu instid0(VALU_DEP_1)
	v_add_nc_u64_e32 v[18:19], v[26:27], v[0:1]
	s_branch .LBB0_422
.LBB0_419:                              ;   in Loop: Header=BB0_422 Depth=2
	s_wait_xcnt 0x0
	s_or_b32 exec_lo, exec_lo, s1
	s_delay_alu instid0(VALU_DEP_1)
	v_readfirstlane_b32 s1, v1
	s_cmp_eq_u32 s1, 0
	s_cbranch_scc1 .LBB0_421
; %bb.420:                              ;   in Loop: Header=BB0_422 Depth=2
	s_sleep 1
	s_cbranch_execnz .LBB0_422
	s_branch .LBB0_424
.LBB0_421:                              ;   in Loop: Header=BB0_137 Depth=1
	s_branch .LBB0_424
.LBB0_422:                              ;   Parent Loop BB0_137 Depth=1
                                        ; =>  This Inner Loop Header: Depth=2
	v_mov_b32_e32 v1, 1
	s_and_saveexec_b32 s1, s0
	s_cbranch_execz .LBB0_419
; %bb.423:                              ;   in Loop: Header=BB0_422 Depth=2
	global_load_b32 v1, v[8:9], off offset:20 scope:SCOPE_SYS
	s_wait_loadcnt 0x0
	global_inv scope:SCOPE_SYS
	v_and_b32_e32 v1, 1, v1
	s_branch .LBB0_419
.LBB0_424:                              ;   in Loop: Header=BB0_137 Depth=1
	global_load_b64 v[18:19], v[18:19], off
	s_wait_xcnt 0x0
	s_and_saveexec_b32 s34, s0
	s_cbranch_execz .LBB0_428
; %bb.425:                              ;   in Loop: Header=BB0_137 Depth=1
	s_clause 0x2
	global_load_b64 v[8:9], v3, s[16:17] offset:40
	global_load_b64 v[24:25], v3, s[16:17] offset:24 scope:SCOPE_SYS
	global_load_b64 v[20:21], v3, s[16:17]
	s_wait_loadcnt 0x2
	v_readfirstlane_b32 s36, v8
	v_readfirstlane_b32 s37, v9
	s_add_nc_u64 s[0:1], s[36:37], 1
	s_delay_alu instid0(SALU_CYCLE_1) | instskip(NEXT) | instid1(SALU_CYCLE_1)
	s_add_nc_u64 s[30:31], s[0:1], s[30:31]
	s_cmp_eq_u64 s[30:31], 0
	s_cselect_b32 s1, s1, s31
	s_cselect_b32 s0, s0, s30
	s_delay_alu instid0(SALU_CYCLE_1) | instskip(SKIP_1) | instid1(SALU_CYCLE_1)
	v_dual_mov_b32 v23, s1 :: v_dual_mov_b32 v22, s0
	s_and_b64 s[30:31], s[0:1], s[36:37]
	s_mul_u64 s[30:31], s[30:31], 24
	s_wait_loadcnt 0x0
	v_add_nc_u64_e32 v[8:9], s[30:31], v[20:21]
	global_store_b64 v[8:9], v[24:25], off
	global_wb scope:SCOPE_SYS
	s_wait_storecnt 0x0
	s_wait_xcnt 0x0
	global_atomic_cmpswap_b64 v[22:23], v3, v[22:25], s[16:17] offset:24 th:TH_ATOMIC_RETURN scope:SCOPE_SYS
	s_wait_loadcnt 0x0
	v_cmp_ne_u64_e32 vcc_lo, v[22:23], v[24:25]
	s_and_b32 exec_lo, exec_lo, vcc_lo
	s_cbranch_execz .LBB0_428
; %bb.426:                              ;   in Loop: Header=BB0_137 Depth=1
	s_mov_b32 s30, 0
.LBB0_427:                              ;   Parent Loop BB0_137 Depth=1
                                        ; =>  This Inner Loop Header: Depth=2
	v_dual_mov_b32 v20, s0 :: v_dual_mov_b32 v21, s1
	s_sleep 1
	global_store_b64 v[8:9], v[22:23], off
	global_wb scope:SCOPE_SYS
	s_wait_storecnt 0x0
	s_wait_xcnt 0x0
	global_atomic_cmpswap_b64 v[20:21], v3, v[20:23], s[16:17] offset:24 th:TH_ATOMIC_RETURN scope:SCOPE_SYS
	s_wait_loadcnt 0x0
	v_cmp_eq_u64_e32 vcc_lo, v[20:21], v[22:23]
	v_mov_b64_e32 v[22:23], v[20:21]
	s_or_b32 s30, vcc_lo, s30
	s_delay_alu instid0(SALU_CYCLE_1)
	s_and_not1_b32 exec_lo, exec_lo, s30
	s_cbranch_execnz .LBB0_427
.LBB0_428:                              ;   in Loop: Header=BB0_137 Depth=1
	s_or_b32 exec_lo, exec_lo, s34
.LBB0_429:                              ;   in Loop: Header=BB0_137 Depth=1
	s_bitcmp0_b32 s44, 0
	s_mov_b64 s[34:35], 0
	s_cselect_b32 s31, s23, s21
	s_cselect_b32 s30, s22, s20
	s_delay_alu instid0(SALU_CYCLE_1)
	s_cmp_lg_u64 s[30:31], 0
	s_cselect_b32 s36, -1, 0
	s_cmp_eq_u64 s[30:31], 0
	s_cbranch_scc1 .LBB0_433
; %bb.430:                              ;   in Loop: Header=BB0_137 Depth=1
	s_add_nc_u64 s[0:1], s[30:31], -1
.LBB0_431:                              ;   Parent Loop BB0_137 Depth=1
                                        ; =>  This Inner Loop Header: Depth=2
	s_load_u8 s34, s[0:1], 0x1
	s_wait_xcnt 0x0
	s_add_nc_u64 s[0:1], s[0:1], 1
	s_wait_kmcnt 0x0
	s_cmp_lg_u32 s34, 0
	s_cbranch_scc1 .LBB0_431
; %bb.432:                              ;   in Loop: Header=BB0_137 Depth=1
	s_sub_nc_u64 s[0:1], s[0:1], s[30:31]
	s_delay_alu instid0(SALU_CYCLE_1)
	s_add_nc_u64 s[34:35], s[0:1], 1
.LBB0_433:                              ;   in Loop: Header=BB0_137 Depth=1
	s_and_b32 vcc_lo, exec_lo, s36
	s_cbranch_vccz .LBB0_512
; %bb.434:                              ;   in Loop: Header=BB0_137 Depth=1
	s_wait_loadcnt 0x0
	v_dual_mov_b32 v21, v19 :: v_dual_bitop2_b32 v8, 2, v18 bitop3:0x40
	v_and_b32_e32 v20, -3, v18
	s_branch .LBB0_436
.LBB0_435:                              ;   in Loop: Header=BB0_436 Depth=2
	s_or_b32 exec_lo, exec_lo, s40
	s_sub_nc_u64 s[34:35], s[34:35], s[36:37]
	s_add_nc_u64 s[30:31], s[30:31], s[36:37]
	s_cmp_lg_u64 s[34:35], 0
	s_cbranch_scc0 .LBB0_511
.LBB0_436:                              ;   Parent Loop BB0_137 Depth=1
                                        ; =>  This Loop Header: Depth=2
                                        ;       Child Loop BB0_439 Depth 3
                                        ;       Child Loop BB0_446 Depth 3
	;; [unrolled: 1-line block ×11, first 2 shown]
	v_min_u64 v[22:23], s[34:35], 56
	v_cmp_gt_u64_e64 s0, s[34:35], 7
	s_and_b32 vcc_lo, exec_lo, s0
	v_readfirstlane_b32 s36, v22
	v_readfirstlane_b32 s37, v23
	s_cbranch_vccnz .LBB0_441
; %bb.437:                              ;   in Loop: Header=BB0_436 Depth=2
	v_mov_b64_e32 v[22:23], 0
	s_cmp_eq_u64 s[34:35], 0
	s_cbranch_scc1 .LBB0_440
; %bb.438:                              ;   in Loop: Header=BB0_436 Depth=2
	s_mov_b64 s[0:1], 0
	s_mov_b64 s[38:39], 0
.LBB0_439:                              ;   Parent Loop BB0_137 Depth=1
                                        ;     Parent Loop BB0_436 Depth=2
                                        ; =>    This Inner Loop Header: Depth=3
	s_wait_xcnt 0x0
	s_add_nc_u64 s[40:41], s[30:31], s[38:39]
	s_add_nc_u64 s[38:39], s[38:39], 1
	global_load_u8 v1, v3, s[40:41]
	s_cmp_lg_u32 s36, s38
	s_wait_loadcnt 0x0
	v_and_b32_e32 v2, 0xffff, v1
	s_delay_alu instid0(VALU_DEP_1) | instskip(SKIP_1) | instid1(VALU_DEP_1)
	v_lshlrev_b64_e32 v[24:25], s0, v[2:3]
	s_add_nc_u64 s[0:1], s[0:1], 8
	v_or_b32_e32 v22, v24, v22
	s_delay_alu instid0(VALU_DEP_2)
	v_or_b32_e32 v23, v25, v23
	s_cbranch_scc1 .LBB0_439
.LBB0_440:                              ;   in Loop: Header=BB0_436 Depth=2
	s_mov_b64 s[0:1], s[30:31]
	s_mov_b32 s45, 0
	s_cbranch_execz .LBB0_442
	s_branch .LBB0_443
.LBB0_441:                              ;   in Loop: Header=BB0_436 Depth=2
	s_add_nc_u64 s[0:1], s[30:31], 8
	s_mov_b32 s45, 0
.LBB0_442:                              ;   in Loop: Header=BB0_436 Depth=2
	global_load_b64 v[22:23], v3, s[30:31]
	s_add_co_i32 s45, s36, -8
.LBB0_443:                              ;   in Loop: Header=BB0_436 Depth=2
	s_delay_alu instid0(SALU_CYCLE_1)
	s_cmp_gt_u32 s45, 7
	s_cbranch_scc1 .LBB0_448
; %bb.444:                              ;   in Loop: Header=BB0_436 Depth=2
	v_mov_b64_e32 v[24:25], 0
	s_cmp_eq_u32 s45, 0
	s_cbranch_scc1 .LBB0_447
; %bb.445:                              ;   in Loop: Header=BB0_436 Depth=2
	s_mov_b64 s[38:39], 0
	s_wait_xcnt 0x0
	s_mov_b64 s[40:41], 0
.LBB0_446:                              ;   Parent Loop BB0_137 Depth=1
                                        ;     Parent Loop BB0_436 Depth=2
                                        ; =>    This Inner Loop Header: Depth=3
	s_wait_xcnt 0x0
	s_add_nc_u64 s[46:47], s[0:1], s[40:41]
	s_add_nc_u64 s[40:41], s[40:41], 1
	global_load_u8 v1, v3, s[46:47]
	s_cmp_lg_u32 s45, s40
	s_wait_loadcnt 0x0
	v_and_b32_e32 v2, 0xffff, v1
	s_delay_alu instid0(VALU_DEP_1) | instskip(SKIP_1) | instid1(VALU_DEP_1)
	v_lshlrev_b64_e32 v[26:27], s38, v[2:3]
	s_add_nc_u64 s[38:39], s[38:39], 8
	v_or_b32_e32 v24, v26, v24
	s_delay_alu instid0(VALU_DEP_2)
	v_or_b32_e32 v25, v27, v25
	s_cbranch_scc1 .LBB0_446
.LBB0_447:                              ;   in Loop: Header=BB0_436 Depth=2
	s_wait_xcnt 0x0
	s_mov_b64 s[38:39], s[0:1]
	s_mov_b32 s46, 0
	s_cbranch_execz .LBB0_449
	s_branch .LBB0_450
.LBB0_448:                              ;   in Loop: Header=BB0_436 Depth=2
	s_add_nc_u64 s[38:39], s[0:1], 8
	s_wait_xcnt 0x0
                                        ; implicit-def: $vgpr24_vgpr25
	s_mov_b32 s46, 0
.LBB0_449:                              ;   in Loop: Header=BB0_436 Depth=2
	global_load_b64 v[24:25], v3, s[0:1]
	s_add_co_i32 s46, s45, -8
.LBB0_450:                              ;   in Loop: Header=BB0_436 Depth=2
	s_delay_alu instid0(SALU_CYCLE_1)
	s_cmp_gt_u32 s46, 7
	s_cbranch_scc1 .LBB0_455
; %bb.451:                              ;   in Loop: Header=BB0_436 Depth=2
	v_mov_b64_e32 v[26:27], 0
	s_cmp_eq_u32 s46, 0
	s_cbranch_scc1 .LBB0_454
; %bb.452:                              ;   in Loop: Header=BB0_436 Depth=2
	s_wait_xcnt 0x0
	s_mov_b64 s[0:1], 0
	s_mov_b64 s[40:41], 0
.LBB0_453:                              ;   Parent Loop BB0_137 Depth=1
                                        ;     Parent Loop BB0_436 Depth=2
                                        ; =>    This Inner Loop Header: Depth=3
	s_wait_xcnt 0x0
	s_add_nc_u64 s[48:49], s[38:39], s[40:41]
	s_add_nc_u64 s[40:41], s[40:41], 1
	global_load_u8 v1, v3, s[48:49]
	s_cmp_lg_u32 s46, s40
	s_wait_loadcnt 0x0
	v_and_b32_e32 v2, 0xffff, v1
	s_delay_alu instid0(VALU_DEP_1) | instskip(SKIP_1) | instid1(VALU_DEP_1)
	v_lshlrev_b64_e32 v[28:29], s0, v[2:3]
	s_add_nc_u64 s[0:1], s[0:1], 8
	v_or_b32_e32 v26, v28, v26
	s_delay_alu instid0(VALU_DEP_2)
	v_or_b32_e32 v27, v29, v27
	s_cbranch_scc1 .LBB0_453
.LBB0_454:                              ;   in Loop: Header=BB0_436 Depth=2
	s_wait_xcnt 0x0
	s_mov_b64 s[0:1], s[38:39]
	s_mov_b32 s45, 0
	s_cbranch_execz .LBB0_456
	s_branch .LBB0_457
.LBB0_455:                              ;   in Loop: Header=BB0_436 Depth=2
	s_wait_xcnt 0x0
	s_add_nc_u64 s[0:1], s[38:39], 8
	s_mov_b32 s45, 0
.LBB0_456:                              ;   in Loop: Header=BB0_436 Depth=2
	global_load_b64 v[26:27], v3, s[38:39]
	s_add_co_i32 s45, s46, -8
.LBB0_457:                              ;   in Loop: Header=BB0_436 Depth=2
	s_delay_alu instid0(SALU_CYCLE_1)
	s_cmp_gt_u32 s45, 7
	s_cbranch_scc1 .LBB0_462
; %bb.458:                              ;   in Loop: Header=BB0_436 Depth=2
	v_mov_b64_e32 v[28:29], 0
	s_cmp_eq_u32 s45, 0
	s_cbranch_scc1 .LBB0_461
; %bb.459:                              ;   in Loop: Header=BB0_436 Depth=2
	s_wait_xcnt 0x0
	s_mov_b64 s[38:39], 0
	s_mov_b64 s[40:41], 0
.LBB0_460:                              ;   Parent Loop BB0_137 Depth=1
                                        ;     Parent Loop BB0_436 Depth=2
                                        ; =>    This Inner Loop Header: Depth=3
	s_wait_xcnt 0x0
	s_add_nc_u64 s[46:47], s[0:1], s[40:41]
	s_add_nc_u64 s[40:41], s[40:41], 1
	global_load_u8 v1, v3, s[46:47]
	s_cmp_lg_u32 s45, s40
	s_wait_loadcnt 0x0
	v_and_b32_e32 v2, 0xffff, v1
	s_delay_alu instid0(VALU_DEP_1) | instskip(SKIP_1) | instid1(VALU_DEP_1)
	v_lshlrev_b64_e32 v[30:31], s38, v[2:3]
	s_add_nc_u64 s[38:39], s[38:39], 8
	v_or_b32_e32 v28, v30, v28
	s_delay_alu instid0(VALU_DEP_2)
	v_or_b32_e32 v29, v31, v29
	s_cbranch_scc1 .LBB0_460
.LBB0_461:                              ;   in Loop: Header=BB0_436 Depth=2
	s_wait_xcnt 0x0
	s_mov_b64 s[38:39], s[0:1]
	s_mov_b32 s46, 0
	s_cbranch_execz .LBB0_463
	s_branch .LBB0_464
.LBB0_462:                              ;   in Loop: Header=BB0_436 Depth=2
	s_wait_xcnt 0x0
	s_add_nc_u64 s[38:39], s[0:1], 8
                                        ; implicit-def: $vgpr28_vgpr29
	s_mov_b32 s46, 0
.LBB0_463:                              ;   in Loop: Header=BB0_436 Depth=2
	global_load_b64 v[28:29], v3, s[0:1]
	s_add_co_i32 s46, s45, -8
.LBB0_464:                              ;   in Loop: Header=BB0_436 Depth=2
	s_delay_alu instid0(SALU_CYCLE_1)
	s_cmp_gt_u32 s46, 7
	s_cbranch_scc1 .LBB0_469
; %bb.465:                              ;   in Loop: Header=BB0_436 Depth=2
	v_mov_b64_e32 v[30:31], 0
	s_cmp_eq_u32 s46, 0
	s_cbranch_scc1 .LBB0_468
; %bb.466:                              ;   in Loop: Header=BB0_436 Depth=2
	s_wait_xcnt 0x0
	s_mov_b64 s[0:1], 0
	s_mov_b64 s[40:41], 0
.LBB0_467:                              ;   Parent Loop BB0_137 Depth=1
                                        ;     Parent Loop BB0_436 Depth=2
                                        ; =>    This Inner Loop Header: Depth=3
	s_wait_xcnt 0x0
	s_add_nc_u64 s[48:49], s[38:39], s[40:41]
	s_add_nc_u64 s[40:41], s[40:41], 1
	global_load_u8 v1, v3, s[48:49]
	s_cmp_lg_u32 s46, s40
	s_wait_loadcnt 0x0
	v_and_b32_e32 v2, 0xffff, v1
	s_delay_alu instid0(VALU_DEP_1) | instskip(SKIP_1) | instid1(VALU_DEP_1)
	v_lshlrev_b64_e32 v[32:33], s0, v[2:3]
	s_add_nc_u64 s[0:1], s[0:1], 8
	v_or_b32_e32 v30, v32, v30
	s_delay_alu instid0(VALU_DEP_2)
	v_or_b32_e32 v31, v33, v31
	s_cbranch_scc1 .LBB0_467
.LBB0_468:                              ;   in Loop: Header=BB0_436 Depth=2
	s_wait_xcnt 0x0
	s_mov_b64 s[0:1], s[38:39]
	s_mov_b32 s45, 0
	s_cbranch_execz .LBB0_470
	s_branch .LBB0_471
.LBB0_469:                              ;   in Loop: Header=BB0_436 Depth=2
	s_wait_xcnt 0x0
	s_add_nc_u64 s[0:1], s[38:39], 8
	s_mov_b32 s45, 0
.LBB0_470:                              ;   in Loop: Header=BB0_436 Depth=2
	global_load_b64 v[30:31], v3, s[38:39]
	s_add_co_i32 s45, s46, -8
.LBB0_471:                              ;   in Loop: Header=BB0_436 Depth=2
	s_delay_alu instid0(SALU_CYCLE_1)
	s_cmp_gt_u32 s45, 7
	s_cbranch_scc1 .LBB0_476
; %bb.472:                              ;   in Loop: Header=BB0_436 Depth=2
	v_mov_b64_e32 v[32:33], 0
	s_cmp_eq_u32 s45, 0
	s_cbranch_scc1 .LBB0_475
; %bb.473:                              ;   in Loop: Header=BB0_436 Depth=2
	s_wait_xcnt 0x0
	s_mov_b64 s[38:39], 0
	s_mov_b64 s[40:41], 0
.LBB0_474:                              ;   Parent Loop BB0_137 Depth=1
                                        ;     Parent Loop BB0_436 Depth=2
                                        ; =>    This Inner Loop Header: Depth=3
	s_wait_xcnt 0x0
	s_add_nc_u64 s[46:47], s[0:1], s[40:41]
	s_add_nc_u64 s[40:41], s[40:41], 1
	global_load_u8 v1, v3, s[46:47]
	s_cmp_lg_u32 s45, s40
	s_wait_loadcnt 0x0
	v_and_b32_e32 v2, 0xffff, v1
	s_delay_alu instid0(VALU_DEP_1) | instskip(SKIP_1) | instid1(VALU_DEP_1)
	v_lshlrev_b64_e32 v[34:35], s38, v[2:3]
	s_add_nc_u64 s[38:39], s[38:39], 8
	v_or_b32_e32 v32, v34, v32
	s_delay_alu instid0(VALU_DEP_2)
	v_or_b32_e32 v33, v35, v33
	s_cbranch_scc1 .LBB0_474
.LBB0_475:                              ;   in Loop: Header=BB0_436 Depth=2
	s_wait_xcnt 0x0
	s_mov_b64 s[38:39], s[0:1]
	s_mov_b32 s46, 0
	s_cbranch_execz .LBB0_477
	s_branch .LBB0_478
.LBB0_476:                              ;   in Loop: Header=BB0_436 Depth=2
	s_wait_xcnt 0x0
	s_add_nc_u64 s[38:39], s[0:1], 8
                                        ; implicit-def: $vgpr32_vgpr33
	s_mov_b32 s46, 0
.LBB0_477:                              ;   in Loop: Header=BB0_436 Depth=2
	global_load_b64 v[32:33], v3, s[0:1]
	s_add_co_i32 s46, s45, -8
.LBB0_478:                              ;   in Loop: Header=BB0_436 Depth=2
	s_delay_alu instid0(SALU_CYCLE_1)
	s_cmp_gt_u32 s46, 7
	s_cbranch_scc1 .LBB0_483
; %bb.479:                              ;   in Loop: Header=BB0_436 Depth=2
	v_mov_b64_e32 v[34:35], 0
	s_cmp_eq_u32 s46, 0
	s_cbranch_scc1 .LBB0_482
; %bb.480:                              ;   in Loop: Header=BB0_436 Depth=2
	s_wait_xcnt 0x0
	s_mov_b64 s[0:1], 0
	s_mov_b64 s[40:41], s[38:39]
.LBB0_481:                              ;   Parent Loop BB0_137 Depth=1
                                        ;     Parent Loop BB0_436 Depth=2
                                        ; =>    This Inner Loop Header: Depth=3
	global_load_u8 v1, v3, s[40:41]
	s_add_co_i32 s46, s46, -1
	s_wait_xcnt 0x0
	s_add_nc_u64 s[40:41], s[40:41], 1
	s_cmp_lg_u32 s46, 0
	s_wait_loadcnt 0x0
	v_and_b32_e32 v2, 0xffff, v1
	s_delay_alu instid0(VALU_DEP_1) | instskip(SKIP_1) | instid1(VALU_DEP_1)
	v_lshlrev_b64_e32 v[36:37], s0, v[2:3]
	s_add_nc_u64 s[0:1], s[0:1], 8
	v_or_b32_e32 v34, v36, v34
	s_delay_alu instid0(VALU_DEP_2)
	v_or_b32_e32 v35, v37, v35
	s_cbranch_scc1 .LBB0_481
.LBB0_482:                              ;   in Loop: Header=BB0_436 Depth=2
	s_wait_xcnt 0x0
	s_cbranch_execz .LBB0_484
	s_branch .LBB0_485
.LBB0_483:                              ;   in Loop: Header=BB0_436 Depth=2
	s_wait_xcnt 0x0
.LBB0_484:                              ;   in Loop: Header=BB0_436 Depth=2
	global_load_b64 v[34:35], v3, s[38:39]
.LBB0_485:                              ;   in Loop: Header=BB0_436 Depth=2
	v_readfirstlane_b32 s0, v46
	v_mov_b64_e32 v[42:43], 0
	s_delay_alu instid0(VALU_DEP_2)
	v_cmp_eq_u32_e64 s0, s0, v46
	s_wait_xcnt 0x0
	s_and_saveexec_b32 s1, s0
	s_cbranch_execz .LBB0_491
; %bb.486:                              ;   in Loop: Header=BB0_436 Depth=2
	global_load_b64 v[38:39], v3, s[16:17] offset:24 scope:SCOPE_SYS
	s_wait_loadcnt 0x0
	global_inv scope:SCOPE_SYS
	s_clause 0x1
	global_load_b64 v[36:37], v3, s[16:17] offset:40
	global_load_b64 v[42:43], v3, s[16:17]
	s_mov_b32 s38, exec_lo
	s_wait_loadcnt 0x1
	v_and_b32_e32 v36, v36, v38
	v_and_b32_e32 v37, v37, v39
	s_delay_alu instid0(VALU_DEP_1) | instskip(SKIP_1) | instid1(VALU_DEP_1)
	v_mul_u64_e32 v[36:37], 24, v[36:37]
	s_wait_loadcnt 0x0
	v_add_nc_u64_e32 v[36:37], v[42:43], v[36:37]
	global_load_b64 v[36:37], v[36:37], off scope:SCOPE_SYS
	s_wait_xcnt 0x0
	s_wait_loadcnt 0x0
	global_atomic_cmpswap_b64 v[42:43], v3, v[36:39], s[16:17] offset:24 th:TH_ATOMIC_RETURN scope:SCOPE_SYS
	s_wait_loadcnt 0x0
	global_inv scope:SCOPE_SYS
	s_wait_xcnt 0x0
	v_cmpx_ne_u64_e64 v[42:43], v[38:39]
	s_cbranch_execz .LBB0_490
; %bb.487:                              ;   in Loop: Header=BB0_436 Depth=2
	s_mov_b32 s39, 0
.LBB0_488:                              ;   Parent Loop BB0_137 Depth=1
                                        ;     Parent Loop BB0_436 Depth=2
                                        ; =>    This Inner Loop Header: Depth=3
	s_sleep 1
	s_clause 0x1
	global_load_b64 v[36:37], v3, s[16:17] offset:40
	global_load_b64 v[44:45], v3, s[16:17]
	v_mov_b64_e32 v[38:39], v[42:43]
	s_wait_loadcnt 0x1
	s_delay_alu instid0(VALU_DEP_1) | instskip(SKIP_1) | instid1(VALU_DEP_1)
	v_and_b32_e32 v1, v36, v38
	s_wait_loadcnt 0x0
	v_mad_nc_u64_u32 v[42:43], v1, 24, v[44:45]
	s_delay_alu instid0(VALU_DEP_3) | instskip(NEXT) | instid1(VALU_DEP_1)
	v_and_b32_e32 v1, v37, v39
	v_mad_u32 v43, v1, 24, v43
	global_load_b64 v[36:37], v[42:43], off scope:SCOPE_SYS
	s_wait_xcnt 0x0
	s_wait_loadcnt 0x0
	global_atomic_cmpswap_b64 v[42:43], v3, v[36:39], s[16:17] offset:24 th:TH_ATOMIC_RETURN scope:SCOPE_SYS
	s_wait_loadcnt 0x0
	global_inv scope:SCOPE_SYS
	v_cmp_eq_u64_e32 vcc_lo, v[42:43], v[38:39]
	s_or_b32 s39, vcc_lo, s39
	s_wait_xcnt 0x0
	s_and_not1_b32 exec_lo, exec_lo, s39
	s_cbranch_execnz .LBB0_488
; %bb.489:                              ;   in Loop: Header=BB0_436 Depth=2
	s_or_b32 exec_lo, exec_lo, s39
.LBB0_490:                              ;   in Loop: Header=BB0_436 Depth=2
	s_delay_alu instid0(SALU_CYCLE_1)
	s_or_b32 exec_lo, exec_lo, s38
.LBB0_491:                              ;   in Loop: Header=BB0_436 Depth=2
	s_delay_alu instid0(SALU_CYCLE_1)
	s_or_b32 exec_lo, exec_lo, s1
	s_clause 0x1
	global_load_b64 v[44:45], v3, s[16:17] offset:40
	global_load_b128 v[36:39], v3, s[16:17]
	v_readfirstlane_b32 s38, v42
	v_readfirstlane_b32 s39, v43
	s_mov_b32 s1, exec_lo
	s_wait_loadcnt 0x1
	v_and_b32_e32 v44, s38, v44
	v_and_b32_e32 v45, s39, v45
	s_delay_alu instid0(VALU_DEP_1) | instskip(SKIP_1) | instid1(VALU_DEP_1)
	v_mul_u64_e32 v[42:43], 24, v[44:45]
	s_wait_loadcnt 0x0
	v_add_nc_u64_e32 v[42:43], v[36:37], v[42:43]
	s_wait_xcnt 0x0
	s_and_saveexec_b32 s40, s0
	s_cbranch_execz .LBB0_493
; %bb.492:                              ;   in Loop: Header=BB0_436 Depth=2
	v_mov_b32_e32 v2, s1
	global_store_b128 v[42:43], v[2:5], off offset:8
.LBB0_493:                              ;   in Loop: Header=BB0_436 Depth=2
	s_wait_xcnt 0x0
	s_or_b32 exec_lo, exec_lo, s40
	v_cmp_lt_u64_e64 vcc_lo, s[34:35], 57
	v_lshlrev_b64_e32 v[44:45], 12, v[44:45]
	v_and_b32_e32 v2, 0xffffff1f, v20
	s_lshl_b32 s1, s36, 2
	s_delay_alu instid0(SALU_CYCLE_1) | instskip(SKIP_1) | instid1(VALU_DEP_3)
	s_add_co_i32 s1, s1, 28
	v_cndmask_b32_e32 v1, 0, v8, vcc_lo
	v_add_nc_u64_e32 v[38:39], v[38:39], v[44:45]
	s_delay_alu instid0(VALU_DEP_2) | instskip(NEXT) | instid1(VALU_DEP_2)
	v_or_b32_e32 v1, v2, v1
	v_readfirstlane_b32 s40, v38
	s_delay_alu instid0(VALU_DEP_3) | instskip(NEXT) | instid1(VALU_DEP_3)
	v_readfirstlane_b32 s41, v39
	v_and_or_b32 v20, 0x1e0, s1, v1
	s_clause 0x3
	global_store_b128 v0, v[20:23], s[40:41]
	global_store_b128 v0, v[24:27], s[40:41] offset:16
	global_store_b128 v0, v[28:31], s[40:41] offset:32
	;; [unrolled: 1-line block ×3, first 2 shown]
	s_wait_xcnt 0x0
	s_and_saveexec_b32 s1, s0
	s_cbranch_execz .LBB0_501
; %bb.494:                              ;   in Loop: Header=BB0_436 Depth=2
	s_clause 0x1
	global_load_b64 v[28:29], v3, s[16:17] offset:32 scope:SCOPE_SYS
	global_load_b64 v[20:21], v3, s[16:17] offset:40
	s_mov_b32 s40, exec_lo
	v_dual_mov_b32 v26, s38 :: v_dual_mov_b32 v27, s39
	s_wait_loadcnt 0x0
	v_and_b32_e32 v21, s39, v21
	v_and_b32_e32 v20, s38, v20
	s_delay_alu instid0(VALU_DEP_1) | instskip(NEXT) | instid1(VALU_DEP_1)
	v_mul_u64_e32 v[20:21], 24, v[20:21]
	v_add_nc_u64_e32 v[24:25], v[36:37], v[20:21]
	global_store_b64 v[24:25], v[28:29], off
	global_wb scope:SCOPE_SYS
	s_wait_storecnt 0x0
	s_wait_xcnt 0x0
	global_atomic_cmpswap_b64 v[22:23], v3, v[26:29], s[16:17] offset:32 th:TH_ATOMIC_RETURN scope:SCOPE_SYS
	s_wait_loadcnt 0x0
	v_cmpx_ne_u64_e64 v[22:23], v[28:29]
	s_cbranch_execz .LBB0_497
; %bb.495:                              ;   in Loop: Header=BB0_436 Depth=2
	s_mov_b32 s41, 0
.LBB0_496:                              ;   Parent Loop BB0_137 Depth=1
                                        ;     Parent Loop BB0_436 Depth=2
                                        ; =>    This Inner Loop Header: Depth=3
	v_dual_mov_b32 v20, s38 :: v_dual_mov_b32 v21, s39
	s_sleep 1
	global_store_b64 v[24:25], v[22:23], off
	global_wb scope:SCOPE_SYS
	s_wait_storecnt 0x0
	s_wait_xcnt 0x0
	global_atomic_cmpswap_b64 v[20:21], v3, v[20:23], s[16:17] offset:32 th:TH_ATOMIC_RETURN scope:SCOPE_SYS
	s_wait_loadcnt 0x0
	v_cmp_eq_u64_e32 vcc_lo, v[20:21], v[22:23]
	v_mov_b64_e32 v[22:23], v[20:21]
	s_or_b32 s41, vcc_lo, s41
	s_delay_alu instid0(SALU_CYCLE_1)
	s_and_not1_b32 exec_lo, exec_lo, s41
	s_cbranch_execnz .LBB0_496
.LBB0_497:                              ;   in Loop: Header=BB0_436 Depth=2
	s_or_b32 exec_lo, exec_lo, s40
	global_load_b64 v[20:21], v3, s[16:17] offset:16
	s_mov_b32 s41, exec_lo
	s_mov_b32 s40, exec_lo
	v_mbcnt_lo_u32_b32 v1, s41, 0
	s_wait_xcnt 0x0
	s_delay_alu instid0(VALU_DEP_1)
	v_cmpx_eq_u32_e32 0, v1
	s_cbranch_execz .LBB0_499
; %bb.498:                              ;   in Loop: Header=BB0_436 Depth=2
	s_bcnt1_i32_b32 s41, s41
	s_delay_alu instid0(SALU_CYCLE_1)
	v_mov_b32_e32 v2, s41
	global_wb scope:SCOPE_SYS
	s_wait_loadcnt 0x0
	s_wait_storecnt 0x0
	global_atomic_add_u64 v[20:21], v[2:3], off offset:8 scope:SCOPE_SYS
.LBB0_499:                              ;   in Loop: Header=BB0_436 Depth=2
	s_wait_xcnt 0x0
	s_or_b32 exec_lo, exec_lo, s40
	s_wait_loadcnt 0x0
	global_load_b64 v[22:23], v[20:21], off offset:16
	s_wait_loadcnt 0x0
	v_cmp_eq_u64_e32 vcc_lo, 0, v[22:23]
	s_cbranch_vccnz .LBB0_501
; %bb.500:                              ;   in Loop: Header=BB0_436 Depth=2
	global_load_b32 v2, v[20:21], off offset:24
	s_wait_loadcnt 0x0
	v_readfirstlane_b32 s40, v2
	global_wb scope:SCOPE_SYS
	s_wait_storecnt 0x0
	s_wait_xcnt 0x0
	global_store_b64 v[22:23], v[2:3], off scope:SCOPE_SYS
	s_and_b32 m0, s40, 0xffffff
	s_sendmsg sendmsg(MSG_INTERRUPT)
.LBB0_501:                              ;   in Loop: Header=BB0_436 Depth=2
	s_wait_xcnt 0x0
	s_or_b32 exec_lo, exec_lo, s1
	v_mov_b32_e32 v1, v3
	s_delay_alu instid0(VALU_DEP_1)
	v_add_nc_u64_e32 v[20:21], v[38:39], v[0:1]
	s_branch .LBB0_505
.LBB0_502:                              ;   in Loop: Header=BB0_505 Depth=3
	s_wait_xcnt 0x0
	s_or_b32 exec_lo, exec_lo, s1
	s_delay_alu instid0(VALU_DEP_1)
	v_readfirstlane_b32 s1, v1
	s_cmp_eq_u32 s1, 0
	s_cbranch_scc1 .LBB0_504
; %bb.503:                              ;   in Loop: Header=BB0_505 Depth=3
	s_sleep 1
	s_cbranch_execnz .LBB0_505
	s_branch .LBB0_507
.LBB0_504:                              ;   in Loop: Header=BB0_436 Depth=2
	s_branch .LBB0_507
.LBB0_505:                              ;   Parent Loop BB0_137 Depth=1
                                        ;     Parent Loop BB0_436 Depth=2
                                        ; =>    This Inner Loop Header: Depth=3
	v_mov_b32_e32 v1, 1
	s_and_saveexec_b32 s1, s0
	s_cbranch_execz .LBB0_502
; %bb.506:                              ;   in Loop: Header=BB0_505 Depth=3
	global_load_b32 v1, v[42:43], off offset:20 scope:SCOPE_SYS
	s_wait_loadcnt 0x0
	global_inv scope:SCOPE_SYS
	v_and_b32_e32 v1, 1, v1
	s_branch .LBB0_502
.LBB0_507:                              ;   in Loop: Header=BB0_436 Depth=2
	global_load_b64 v[20:21], v[20:21], off
	s_wait_xcnt 0x0
	s_and_saveexec_b32 s40, s0
	s_cbranch_execz .LBB0_435
; %bb.508:                              ;   in Loop: Header=BB0_436 Depth=2
	s_clause 0x2
	global_load_b64 v[22:23], v3, s[16:17] offset:40
	global_load_b64 v[30:31], v3, s[16:17] offset:24 scope:SCOPE_SYS
	global_load_b64 v[24:25], v3, s[16:17]
	s_wait_loadcnt 0x2
	v_readfirstlane_b32 s46, v22
	v_readfirstlane_b32 s47, v23
	s_add_nc_u64 s[0:1], s[46:47], 1
	s_delay_alu instid0(SALU_CYCLE_1) | instskip(NEXT) | instid1(SALU_CYCLE_1)
	s_add_nc_u64 s[38:39], s[0:1], s[38:39]
	s_cmp_eq_u64 s[38:39], 0
	s_cselect_b32 s1, s1, s39
	s_cselect_b32 s0, s0, s38
	s_delay_alu instid0(SALU_CYCLE_1) | instskip(SKIP_1) | instid1(SALU_CYCLE_1)
	v_dual_mov_b32 v29, s1 :: v_dual_mov_b32 v28, s0
	s_and_b64 s[38:39], s[0:1], s[46:47]
	s_mul_u64 s[38:39], s[38:39], 24
	s_wait_loadcnt 0x0
	v_add_nc_u64_e32 v[26:27], s[38:39], v[24:25]
	global_store_b64 v[26:27], v[30:31], off
	global_wb scope:SCOPE_SYS
	s_wait_storecnt 0x0
	s_wait_xcnt 0x0
	global_atomic_cmpswap_b64 v[24:25], v3, v[28:31], s[16:17] offset:24 th:TH_ATOMIC_RETURN scope:SCOPE_SYS
	s_wait_loadcnt 0x0
	v_cmp_ne_u64_e32 vcc_lo, v[24:25], v[30:31]
	s_and_b32 exec_lo, exec_lo, vcc_lo
	s_cbranch_execz .LBB0_435
; %bb.509:                              ;   in Loop: Header=BB0_436 Depth=2
	s_mov_b32 s38, 0
.LBB0_510:                              ;   Parent Loop BB0_137 Depth=1
                                        ;     Parent Loop BB0_436 Depth=2
                                        ; =>    This Inner Loop Header: Depth=3
	v_dual_mov_b32 v22, s0 :: v_dual_mov_b32 v23, s1
	s_sleep 1
	global_store_b64 v[26:27], v[24:25], off
	global_wb scope:SCOPE_SYS
	s_wait_storecnt 0x0
	s_wait_xcnt 0x0
	global_atomic_cmpswap_b64 v[22:23], v3, v[22:25], s[16:17] offset:24 th:TH_ATOMIC_RETURN scope:SCOPE_SYS
	s_wait_loadcnt 0x0
	v_cmp_eq_u64_e32 vcc_lo, v[22:23], v[24:25]
	v_mov_b64_e32 v[24:25], v[22:23]
	s_or_b32 s38, vcc_lo, s38
	s_delay_alu instid0(SALU_CYCLE_1)
	s_and_not1_b32 exec_lo, exec_lo, s38
	s_cbranch_execnz .LBB0_510
	s_branch .LBB0_435
.LBB0_511:                              ;   in Loop: Header=BB0_137 Depth=1
	s_branch .LBB0_540
.LBB0_512:                              ;   in Loop: Header=BB0_137 Depth=1
                                        ; implicit-def: $vgpr20_vgpr21
	s_cbranch_execz .LBB0_540
; %bb.513:                              ;   in Loop: Header=BB0_137 Depth=1
	v_readfirstlane_b32 s0, v46
	v_mov_b64_e32 v[8:9], 0
	s_delay_alu instid0(VALU_DEP_2)
	v_cmp_eq_u32_e64 s0, s0, v46
	s_and_saveexec_b32 s1, s0
	s_cbranch_execz .LBB0_519
; %bb.514:                              ;   in Loop: Header=BB0_137 Depth=1
	s_wait_loadcnt 0x0
	global_load_b64 v[22:23], v3, s[16:17] offset:24 scope:SCOPE_SYS
	s_wait_loadcnt 0x0
	global_inv scope:SCOPE_SYS
	s_clause 0x1
	global_load_b64 v[8:9], v3, s[16:17] offset:40
	global_load_b64 v[20:21], v3, s[16:17]
	s_mov_b32 s30, exec_lo
	s_wait_loadcnt 0x1
	v_and_b32_e32 v8, v8, v22
	v_and_b32_e32 v9, v9, v23
	s_delay_alu instid0(VALU_DEP_1) | instskip(SKIP_1) | instid1(VALU_DEP_1)
	v_mul_u64_e32 v[8:9], 24, v[8:9]
	s_wait_loadcnt 0x0
	v_add_nc_u64_e32 v[8:9], v[20:21], v[8:9]
	global_load_b64 v[20:21], v[8:9], off scope:SCOPE_SYS
	s_wait_xcnt 0x0
	s_wait_loadcnt 0x0
	global_atomic_cmpswap_b64 v[8:9], v3, v[20:23], s[16:17] offset:24 th:TH_ATOMIC_RETURN scope:SCOPE_SYS
	s_wait_loadcnt 0x0
	global_inv scope:SCOPE_SYS
	s_wait_xcnt 0x0
	v_cmpx_ne_u64_e64 v[8:9], v[22:23]
	s_cbranch_execz .LBB0_518
; %bb.515:                              ;   in Loop: Header=BB0_137 Depth=1
	s_mov_b32 s31, 0
.LBB0_516:                              ;   Parent Loop BB0_137 Depth=1
                                        ; =>  This Inner Loop Header: Depth=2
	s_sleep 1
	s_clause 0x1
	global_load_b64 v[20:21], v3, s[16:17] offset:40
	global_load_b64 v[24:25], v3, s[16:17]
	v_mov_b64_e32 v[22:23], v[8:9]
	s_wait_loadcnt 0x1
	s_delay_alu instid0(VALU_DEP_1) | instskip(SKIP_1) | instid1(VALU_DEP_1)
	v_and_b32_e32 v1, v20, v22
	s_wait_loadcnt 0x0
	v_mad_nc_u64_u32 v[8:9], v1, 24, v[24:25]
	s_delay_alu instid0(VALU_DEP_3) | instskip(NEXT) | instid1(VALU_DEP_1)
	v_and_b32_e32 v1, v21, v23
	v_mad_u32 v9, v1, 24, v9
	global_load_b64 v[20:21], v[8:9], off scope:SCOPE_SYS
	s_wait_xcnt 0x0
	s_wait_loadcnt 0x0
	global_atomic_cmpswap_b64 v[8:9], v3, v[20:23], s[16:17] offset:24 th:TH_ATOMIC_RETURN scope:SCOPE_SYS
	s_wait_loadcnt 0x0
	global_inv scope:SCOPE_SYS
	v_cmp_eq_u64_e32 vcc_lo, v[8:9], v[22:23]
	s_or_b32 s31, vcc_lo, s31
	s_wait_xcnt 0x0
	s_and_not1_b32 exec_lo, exec_lo, s31
	s_cbranch_execnz .LBB0_516
; %bb.517:                              ;   in Loop: Header=BB0_137 Depth=1
	s_or_b32 exec_lo, exec_lo, s31
.LBB0_518:                              ;   in Loop: Header=BB0_137 Depth=1
	s_delay_alu instid0(SALU_CYCLE_1)
	s_or_b32 exec_lo, exec_lo, s30
.LBB0_519:                              ;   in Loop: Header=BB0_137 Depth=1
	s_delay_alu instid0(SALU_CYCLE_1)
	s_or_b32 exec_lo, exec_lo, s1
	s_wait_loadcnt 0x0
	s_clause 0x1
	global_load_b64 v[20:21], v3, s[16:17] offset:40
	global_load_b128 v[22:25], v3, s[16:17]
	v_readfirstlane_b32 s30, v8
	v_readfirstlane_b32 s31, v9
	s_mov_b32 s1, exec_lo
	s_wait_loadcnt 0x1
	v_and_b32_e32 v20, s30, v20
	v_and_b32_e32 v21, s31, v21
	s_delay_alu instid0(VALU_DEP_1) | instskip(SKIP_1) | instid1(VALU_DEP_1)
	v_mul_u64_e32 v[8:9], 24, v[20:21]
	s_wait_loadcnt 0x0
	v_add_nc_u64_e32 v[8:9], v[22:23], v[8:9]
	s_wait_xcnt 0x0
	s_and_saveexec_b32 s34, s0
	s_cbranch_execz .LBB0_521
; %bb.520:                              ;   in Loop: Header=BB0_137 Depth=1
	v_mov_b32_e32 v2, s1
	global_store_b128 v[8:9], v[2:5], off offset:8
.LBB0_521:                              ;   in Loop: Header=BB0_137 Depth=1
	s_wait_xcnt 0x0
	s_or_b32 exec_lo, exec_lo, s34
	v_lshlrev_b64_e32 v[20:21], 12, v[20:21]
	v_mov_b64_e32 v[28:29], s[10:11]
	v_mov_b64_e32 v[26:27], s[8:9]
	v_and_or_b32 v18, 0xffffff1f, v18, 32
	s_delay_alu instid0(VALU_DEP_4) | instskip(SKIP_1) | instid1(VALU_DEP_2)
	v_add_nc_u64_e32 v[24:25], v[24:25], v[20:21]
	v_dual_mov_b32 v20, v3 :: v_dual_mov_b32 v21, v3
	v_readfirstlane_b32 s34, v24
	s_delay_alu instid0(VALU_DEP_3)
	v_readfirstlane_b32 s35, v25
	s_clause 0x3
	global_store_b128 v0, v[18:21], s[34:35]
	global_store_b128 v0, v[26:29], s[34:35] offset:16
	global_store_b128 v0, v[26:29], s[34:35] offset:32
	;; [unrolled: 1-line block ×3, first 2 shown]
	s_wait_xcnt 0x0
	s_and_saveexec_b32 s1, s0
	s_cbranch_execz .LBB0_529
; %bb.522:                              ;   in Loop: Header=BB0_137 Depth=1
	s_clause 0x1
	global_load_b64 v[28:29], v3, s[16:17] offset:32 scope:SCOPE_SYS
	global_load_b64 v[18:19], v3, s[16:17] offset:40
	s_mov_b32 s34, exec_lo
	v_dual_mov_b32 v26, s30 :: v_dual_mov_b32 v27, s31
	s_wait_loadcnt 0x0
	v_and_b32_e32 v19, s31, v19
	v_and_b32_e32 v18, s30, v18
	s_delay_alu instid0(VALU_DEP_1) | instskip(NEXT) | instid1(VALU_DEP_1)
	v_mul_u64_e32 v[18:19], 24, v[18:19]
	v_add_nc_u64_e32 v[22:23], v[22:23], v[18:19]
	global_store_b64 v[22:23], v[28:29], off
	global_wb scope:SCOPE_SYS
	s_wait_storecnt 0x0
	s_wait_xcnt 0x0
	global_atomic_cmpswap_b64 v[20:21], v3, v[26:29], s[16:17] offset:32 th:TH_ATOMIC_RETURN scope:SCOPE_SYS
	s_wait_loadcnt 0x0
	v_cmpx_ne_u64_e64 v[20:21], v[28:29]
	s_cbranch_execz .LBB0_525
; %bb.523:                              ;   in Loop: Header=BB0_137 Depth=1
	s_mov_b32 s35, 0
.LBB0_524:                              ;   Parent Loop BB0_137 Depth=1
                                        ; =>  This Inner Loop Header: Depth=2
	v_dual_mov_b32 v18, s30 :: v_dual_mov_b32 v19, s31
	s_sleep 1
	global_store_b64 v[22:23], v[20:21], off
	global_wb scope:SCOPE_SYS
	s_wait_storecnt 0x0
	s_wait_xcnt 0x0
	global_atomic_cmpswap_b64 v[18:19], v3, v[18:21], s[16:17] offset:32 th:TH_ATOMIC_RETURN scope:SCOPE_SYS
	s_wait_loadcnt 0x0
	v_cmp_eq_u64_e32 vcc_lo, v[18:19], v[20:21]
	v_mov_b64_e32 v[20:21], v[18:19]
	s_or_b32 s35, vcc_lo, s35
	s_delay_alu instid0(SALU_CYCLE_1)
	s_and_not1_b32 exec_lo, exec_lo, s35
	s_cbranch_execnz .LBB0_524
.LBB0_525:                              ;   in Loop: Header=BB0_137 Depth=1
	s_or_b32 exec_lo, exec_lo, s34
	global_load_b64 v[18:19], v3, s[16:17] offset:16
	s_mov_b32 s35, exec_lo
	s_mov_b32 s34, exec_lo
	v_mbcnt_lo_u32_b32 v1, s35, 0
	s_wait_xcnt 0x0
	s_delay_alu instid0(VALU_DEP_1)
	v_cmpx_eq_u32_e32 0, v1
	s_cbranch_execz .LBB0_527
; %bb.526:                              ;   in Loop: Header=BB0_137 Depth=1
	s_bcnt1_i32_b32 s35, s35
	s_delay_alu instid0(SALU_CYCLE_1)
	v_mov_b32_e32 v2, s35
	global_wb scope:SCOPE_SYS
	s_wait_loadcnt 0x0
	s_wait_storecnt 0x0
	global_atomic_add_u64 v[18:19], v[2:3], off offset:8 scope:SCOPE_SYS
.LBB0_527:                              ;   in Loop: Header=BB0_137 Depth=1
	s_wait_xcnt 0x0
	s_or_b32 exec_lo, exec_lo, s34
	s_wait_loadcnt 0x0
	global_load_b64 v[20:21], v[18:19], off offset:16
	s_wait_loadcnt 0x0
	v_cmp_eq_u64_e32 vcc_lo, 0, v[20:21]
	s_cbranch_vccnz .LBB0_529
; %bb.528:                              ;   in Loop: Header=BB0_137 Depth=1
	global_load_b32 v2, v[18:19], off offset:24
	s_wait_loadcnt 0x0
	v_readfirstlane_b32 s34, v2
	global_wb scope:SCOPE_SYS
	s_wait_storecnt 0x0
	s_wait_xcnt 0x0
	global_store_b64 v[20:21], v[2:3], off scope:SCOPE_SYS
	s_and_b32 m0, s34, 0xffffff
	s_sendmsg sendmsg(MSG_INTERRUPT)
.LBB0_529:                              ;   in Loop: Header=BB0_137 Depth=1
	s_wait_xcnt 0x0
	s_or_b32 exec_lo, exec_lo, s1
	v_mov_b32_e32 v1, v3
	s_delay_alu instid0(VALU_DEP_1)
	v_add_nc_u64_e32 v[18:19], v[24:25], v[0:1]
	s_branch .LBB0_533
.LBB0_530:                              ;   in Loop: Header=BB0_533 Depth=2
	s_wait_xcnt 0x0
	s_or_b32 exec_lo, exec_lo, s1
	s_delay_alu instid0(VALU_DEP_1)
	v_readfirstlane_b32 s1, v1
	s_cmp_eq_u32 s1, 0
	s_cbranch_scc1 .LBB0_532
; %bb.531:                              ;   in Loop: Header=BB0_533 Depth=2
	s_sleep 1
	s_cbranch_execnz .LBB0_533
	s_branch .LBB0_535
.LBB0_532:                              ;   in Loop: Header=BB0_137 Depth=1
	s_branch .LBB0_535
.LBB0_533:                              ;   Parent Loop BB0_137 Depth=1
                                        ; =>  This Inner Loop Header: Depth=2
	v_mov_b32_e32 v1, 1
	s_and_saveexec_b32 s1, s0
	s_cbranch_execz .LBB0_530
; %bb.534:                              ;   in Loop: Header=BB0_533 Depth=2
	global_load_b32 v1, v[8:9], off offset:20 scope:SCOPE_SYS
	s_wait_loadcnt 0x0
	global_inv scope:SCOPE_SYS
	v_and_b32_e32 v1, 1, v1
	s_branch .LBB0_530
.LBB0_535:                              ;   in Loop: Header=BB0_137 Depth=1
	global_load_b64 v[20:21], v[18:19], off
	s_wait_xcnt 0x0
	s_and_saveexec_b32 s34, s0
	s_cbranch_execz .LBB0_539
; %bb.536:                              ;   in Loop: Header=BB0_137 Depth=1
	s_clause 0x2
	global_load_b64 v[8:9], v3, s[16:17] offset:40
	global_load_b64 v[26:27], v3, s[16:17] offset:24 scope:SCOPE_SYS
	global_load_b64 v[18:19], v3, s[16:17]
	s_wait_loadcnt 0x2
	v_readfirstlane_b32 s36, v8
	v_readfirstlane_b32 s37, v9
	s_add_nc_u64 s[0:1], s[36:37], 1
	s_delay_alu instid0(SALU_CYCLE_1) | instskip(NEXT) | instid1(SALU_CYCLE_1)
	s_add_nc_u64 s[30:31], s[0:1], s[30:31]
	s_cmp_eq_u64 s[30:31], 0
	s_cselect_b32 s1, s1, s31
	s_cselect_b32 s0, s0, s30
	s_delay_alu instid0(SALU_CYCLE_1) | instskip(SKIP_1) | instid1(SALU_CYCLE_1)
	v_dual_mov_b32 v25, s1 :: v_dual_mov_b32 v24, s0
	s_and_b64 s[30:31], s[0:1], s[36:37]
	s_mul_u64 s[30:31], s[30:31], 24
	s_wait_loadcnt 0x0
	v_add_nc_u64_e32 v[8:9], s[30:31], v[18:19]
	global_store_b64 v[8:9], v[26:27], off
	global_wb scope:SCOPE_SYS
	s_wait_storecnt 0x0
	s_wait_xcnt 0x0
	global_atomic_cmpswap_b64 v[24:25], v3, v[24:27], s[16:17] offset:24 th:TH_ATOMIC_RETURN scope:SCOPE_SYS
	s_wait_loadcnt 0x0
	v_cmp_ne_u64_e32 vcc_lo, v[24:25], v[26:27]
	s_and_b32 exec_lo, exec_lo, vcc_lo
	s_cbranch_execz .LBB0_539
; %bb.537:                              ;   in Loop: Header=BB0_137 Depth=1
	s_mov_b32 s30, 0
.LBB0_538:                              ;   Parent Loop BB0_137 Depth=1
                                        ; =>  This Inner Loop Header: Depth=2
	v_dual_mov_b32 v22, s0 :: v_dual_mov_b32 v23, s1
	s_sleep 1
	global_store_b64 v[8:9], v[24:25], off
	global_wb scope:SCOPE_SYS
	s_wait_storecnt 0x0
	s_wait_xcnt 0x0
	global_atomic_cmpswap_b64 v[18:19], v3, v[22:25], s[16:17] offset:24 th:TH_ATOMIC_RETURN scope:SCOPE_SYS
	s_wait_loadcnt 0x0
	v_cmp_eq_u64_e32 vcc_lo, v[18:19], v[24:25]
	v_mov_b64_e32 v[24:25], v[18:19]
	s_or_b32 s30, vcc_lo, s30
	s_delay_alu instid0(SALU_CYCLE_1)
	s_and_not1_b32 exec_lo, exec_lo, s30
	s_cbranch_execnz .LBB0_538
.LBB0_539:                              ;   in Loop: Header=BB0_137 Depth=1
	s_or_b32 exec_lo, exec_lo, s34
.LBB0_540:                              ;   in Loop: Header=BB0_137 Depth=1
	v_readfirstlane_b32 s0, v46
	v_mov_b64_e32 v[8:9], 0
	s_delay_alu instid0(VALU_DEP_2)
	v_cmp_eq_u32_e64 s0, s0, v46
	s_and_saveexec_b32 s1, s0
	s_cbranch_execz .LBB0_546
; %bb.541:                              ;   in Loop: Header=BB0_137 Depth=1
	global_load_b64 v[24:25], v3, s[16:17] offset:24 scope:SCOPE_SYS
	s_wait_loadcnt 0x0
	global_inv scope:SCOPE_SYS
	s_clause 0x1
	global_load_b64 v[8:9], v3, s[16:17] offset:40
	global_load_b64 v[18:19], v3, s[16:17]
	s_mov_b32 s30, exec_lo
	s_wait_loadcnt 0x1
	v_and_b32_e32 v8, v8, v24
	v_and_b32_e32 v9, v9, v25
	s_delay_alu instid0(VALU_DEP_1) | instskip(SKIP_1) | instid1(VALU_DEP_1)
	v_mul_u64_e32 v[8:9], 24, v[8:9]
	s_wait_loadcnt 0x0
	v_add_nc_u64_e32 v[8:9], v[18:19], v[8:9]
	global_load_b64 v[22:23], v[8:9], off scope:SCOPE_SYS
	s_wait_xcnt 0x0
	s_wait_loadcnt 0x0
	global_atomic_cmpswap_b64 v[8:9], v3, v[22:25], s[16:17] offset:24 th:TH_ATOMIC_RETURN scope:SCOPE_SYS
	s_wait_loadcnt 0x0
	global_inv scope:SCOPE_SYS
	s_wait_xcnt 0x0
	v_cmpx_ne_u64_e64 v[8:9], v[24:25]
	s_cbranch_execz .LBB0_545
; %bb.542:                              ;   in Loop: Header=BB0_137 Depth=1
	s_mov_b32 s31, 0
.LBB0_543:                              ;   Parent Loop BB0_137 Depth=1
                                        ; =>  This Inner Loop Header: Depth=2
	s_sleep 1
	s_clause 0x1
	global_load_b64 v[18:19], v3, s[16:17] offset:40
	global_load_b64 v[22:23], v3, s[16:17]
	v_mov_b64_e32 v[24:25], v[8:9]
	s_wait_loadcnt 0x1
	s_delay_alu instid0(VALU_DEP_1) | instskip(SKIP_1) | instid1(VALU_DEP_1)
	v_and_b32_e32 v1, v18, v24
	s_wait_loadcnt 0x0
	v_mad_nc_u64_u32 v[8:9], v1, 24, v[22:23]
	s_delay_alu instid0(VALU_DEP_3) | instskip(NEXT) | instid1(VALU_DEP_1)
	v_and_b32_e32 v1, v19, v25
	v_mad_u32 v9, v1, 24, v9
	global_load_b64 v[22:23], v[8:9], off scope:SCOPE_SYS
	s_wait_xcnt 0x0
	s_wait_loadcnt 0x0
	global_atomic_cmpswap_b64 v[8:9], v3, v[22:25], s[16:17] offset:24 th:TH_ATOMIC_RETURN scope:SCOPE_SYS
	s_wait_loadcnt 0x0
	global_inv scope:SCOPE_SYS
	v_cmp_eq_u64_e32 vcc_lo, v[8:9], v[24:25]
	s_or_b32 s31, vcc_lo, s31
	s_wait_xcnt 0x0
	s_and_not1_b32 exec_lo, exec_lo, s31
	s_cbranch_execnz .LBB0_543
; %bb.544:                              ;   in Loop: Header=BB0_137 Depth=1
	s_or_b32 exec_lo, exec_lo, s31
.LBB0_545:                              ;   in Loop: Header=BB0_137 Depth=1
	s_delay_alu instid0(SALU_CYCLE_1)
	s_or_b32 exec_lo, exec_lo, s30
.LBB0_546:                              ;   in Loop: Header=BB0_137 Depth=1
	s_delay_alu instid0(SALU_CYCLE_1)
	s_or_b32 exec_lo, exec_lo, s1
	s_wait_loadcnt 0x0
	s_clause 0x1
	global_load_b64 v[18:19], v3, s[16:17] offset:40
	global_load_b128 v[24:27], v3, s[16:17]
	v_readfirstlane_b32 s30, v8
	v_readfirstlane_b32 s31, v9
	s_mov_b32 s1, exec_lo
	s_wait_loadcnt 0x1
	v_and_b32_e32 v18, s30, v18
	v_and_b32_e32 v19, s31, v19
	s_delay_alu instid0(VALU_DEP_1) | instskip(SKIP_1) | instid1(VALU_DEP_1)
	v_mul_u64_e32 v[8:9], 24, v[18:19]
	s_wait_loadcnt 0x0
	v_add_nc_u64_e32 v[8:9], v[24:25], v[8:9]
	s_wait_xcnt 0x0
	s_and_saveexec_b32 s34, s0
	s_cbranch_execz .LBB0_548
; %bb.547:                              ;   in Loop: Header=BB0_137 Depth=1
	v_mov_b32_e32 v2, s1
	global_store_b128 v[8:9], v[2:5], off offset:8
.LBB0_548:                              ;   in Loop: Header=BB0_137 Depth=1
	s_wait_xcnt 0x0
	s_or_b32 exec_lo, exec_lo, s34
	v_lshlrev_b64_e32 v[18:19], 12, v[18:19]
	s_ashr_i32 s1, s44, 1
	v_and_or_b32 v20, 0xffffff1d, v20, 34
	v_dual_mov_b32 v23, v3 :: v_dual_mov_b32 v22, s1
	s_delay_alu instid0(VALU_DEP_3) | instskip(SKIP_2) | instid1(VALU_DEP_3)
	v_add_nc_u64_e32 v[18:19], v[26:27], v[18:19]
	v_mov_b64_e32 v[28:29], s[10:11]
	v_mov_b64_e32 v[26:27], s[8:9]
	v_readfirstlane_b32 s34, v18
	s_delay_alu instid0(VALU_DEP_4)
	v_readfirstlane_b32 s35, v19
	s_clause 0x3
	global_store_b128 v0, v[20:23], s[34:35]
	global_store_b128 v0, v[26:29], s[34:35] offset:16
	global_store_b128 v0, v[26:29], s[34:35] offset:32
	;; [unrolled: 1-line block ×3, first 2 shown]
	s_wait_xcnt 0x0
	s_and_saveexec_b32 s1, s0
	s_cbranch_execz .LBB0_556
; %bb.549:                              ;   in Loop: Header=BB0_137 Depth=1
	s_clause 0x1
	global_load_b64 v[26:27], v3, s[16:17] offset:32 scope:SCOPE_SYS
	global_load_b64 v[18:19], v3, s[16:17] offset:40
	s_mov_b32 s34, exec_lo
	s_wait_loadcnt 0x0
	v_and_b32_e32 v18, s30, v18
	v_and_b32_e32 v19, s31, v19
	s_delay_alu instid0(VALU_DEP_1) | instskip(NEXT) | instid1(VALU_DEP_1)
	v_mul_u64_e32 v[18:19], 24, v[18:19]
	v_add_nc_u64_e32 v[22:23], v[24:25], v[18:19]
	v_dual_mov_b32 v24, s30 :: v_dual_mov_b32 v25, s31
	global_store_b64 v[22:23], v[26:27], off
	global_wb scope:SCOPE_SYS
	s_wait_storecnt 0x0
	s_wait_xcnt 0x0
	global_atomic_cmpswap_b64 v[20:21], v3, v[24:27], s[16:17] offset:32 th:TH_ATOMIC_RETURN scope:SCOPE_SYS
	s_wait_loadcnt 0x0
	v_cmpx_ne_u64_e64 v[20:21], v[26:27]
	s_cbranch_execz .LBB0_552
; %bb.550:                              ;   in Loop: Header=BB0_137 Depth=1
	s_mov_b32 s35, 0
.LBB0_551:                              ;   Parent Loop BB0_137 Depth=1
                                        ; =>  This Inner Loop Header: Depth=2
	v_dual_mov_b32 v18, s30 :: v_dual_mov_b32 v19, s31
	s_sleep 1
	global_store_b64 v[22:23], v[20:21], off
	global_wb scope:SCOPE_SYS
	s_wait_storecnt 0x0
	s_wait_xcnt 0x0
	global_atomic_cmpswap_b64 v[18:19], v3, v[18:21], s[16:17] offset:32 th:TH_ATOMIC_RETURN scope:SCOPE_SYS
	s_wait_loadcnt 0x0
	v_cmp_eq_u64_e32 vcc_lo, v[18:19], v[20:21]
	v_mov_b64_e32 v[20:21], v[18:19]
	s_or_b32 s35, vcc_lo, s35
	s_delay_alu instid0(SALU_CYCLE_1)
	s_and_not1_b32 exec_lo, exec_lo, s35
	s_cbranch_execnz .LBB0_551
.LBB0_552:                              ;   in Loop: Header=BB0_137 Depth=1
	s_or_b32 exec_lo, exec_lo, s34
	global_load_b64 v[18:19], v3, s[16:17] offset:16
	s_mov_b32 s35, exec_lo
	s_mov_b32 s34, exec_lo
	v_mbcnt_lo_u32_b32 v1, s35, 0
	s_wait_xcnt 0x0
	s_delay_alu instid0(VALU_DEP_1)
	v_cmpx_eq_u32_e32 0, v1
	s_cbranch_execz .LBB0_554
; %bb.553:                              ;   in Loop: Header=BB0_137 Depth=1
	s_bcnt1_i32_b32 s35, s35
	s_delay_alu instid0(SALU_CYCLE_1)
	v_mov_b32_e32 v2, s35
	global_wb scope:SCOPE_SYS
	s_wait_loadcnt 0x0
	s_wait_storecnt 0x0
	global_atomic_add_u64 v[18:19], v[2:3], off offset:8 scope:SCOPE_SYS
.LBB0_554:                              ;   in Loop: Header=BB0_137 Depth=1
	s_wait_xcnt 0x0
	s_or_b32 exec_lo, exec_lo, s34
	s_wait_loadcnt 0x0
	global_load_b64 v[20:21], v[18:19], off offset:16
	s_wait_loadcnt 0x0
	v_cmp_eq_u64_e32 vcc_lo, 0, v[20:21]
	s_cbranch_vccnz .LBB0_556
; %bb.555:                              ;   in Loop: Header=BB0_137 Depth=1
	global_load_b32 v2, v[18:19], off offset:24
	s_wait_loadcnt 0x0
	v_readfirstlane_b32 s34, v2
	global_wb scope:SCOPE_SYS
	s_wait_storecnt 0x0
	s_wait_xcnt 0x0
	global_store_b64 v[20:21], v[2:3], off scope:SCOPE_SYS
	s_and_b32 m0, s34, 0xffffff
	s_sendmsg sendmsg(MSG_INTERRUPT)
.LBB0_556:                              ;   in Loop: Header=BB0_137 Depth=1
	s_wait_xcnt 0x0
	s_or_b32 exec_lo, exec_lo, s1
	s_branch .LBB0_560
.LBB0_557:                              ;   in Loop: Header=BB0_560 Depth=2
	s_wait_xcnt 0x0
	s_or_b32 exec_lo, exec_lo, s1
	s_delay_alu instid0(VALU_DEP_1)
	v_readfirstlane_b32 s1, v1
	s_cmp_eq_u32 s1, 0
	s_cbranch_scc1 .LBB0_559
; %bb.558:                              ;   in Loop: Header=BB0_560 Depth=2
	s_sleep 1
	s_cbranch_execnz .LBB0_560
	s_branch .LBB0_562
.LBB0_559:                              ;   in Loop: Header=BB0_137 Depth=1
	s_branch .LBB0_562
.LBB0_560:                              ;   Parent Loop BB0_137 Depth=1
                                        ; =>  This Inner Loop Header: Depth=2
	v_mov_b32_e32 v1, 1
	s_and_saveexec_b32 s1, s0
	s_cbranch_execz .LBB0_557
; %bb.561:                              ;   in Loop: Header=BB0_560 Depth=2
	global_load_b32 v1, v[8:9], off offset:20 scope:SCOPE_SYS
	s_wait_loadcnt 0x0
	global_inv scope:SCOPE_SYS
	v_and_b32_e32 v1, 1, v1
	s_branch .LBB0_557
.LBB0_562:                              ;   in Loop: Header=BB0_137 Depth=1
	s_and_saveexec_b32 s34, s0
	s_cbranch_execz .LBB0_566
; %bb.563:                              ;   in Loop: Header=BB0_137 Depth=1
	s_clause 0x2
	global_load_b64 v[8:9], v3, s[16:17] offset:40
	global_load_b64 v[22:23], v3, s[16:17] offset:24 scope:SCOPE_SYS
	global_load_b64 v[18:19], v3, s[16:17]
	s_wait_loadcnt 0x2
	v_readfirstlane_b32 s36, v8
	v_readfirstlane_b32 s37, v9
	s_add_nc_u64 s[0:1], s[36:37], 1
	s_delay_alu instid0(SALU_CYCLE_1) | instskip(NEXT) | instid1(SALU_CYCLE_1)
	s_add_nc_u64 s[30:31], s[0:1], s[30:31]
	s_cmp_eq_u64 s[30:31], 0
	s_cselect_b32 s1, s1, s31
	s_cselect_b32 s0, s0, s30
	s_delay_alu instid0(SALU_CYCLE_1) | instskip(SKIP_1) | instid1(SALU_CYCLE_1)
	v_dual_mov_b32 v21, s1 :: v_dual_mov_b32 v20, s0
	s_and_b64 s[30:31], s[0:1], s[36:37]
	s_mul_u64 s[30:31], s[30:31], 24
	s_wait_loadcnt 0x0
	v_add_nc_u64_e32 v[8:9], s[30:31], v[18:19]
	global_store_b64 v[8:9], v[22:23], off
	global_wb scope:SCOPE_SYS
	s_wait_storecnt 0x0
	s_wait_xcnt 0x0
	global_atomic_cmpswap_b64 v[20:21], v3, v[20:23], s[16:17] offset:24 th:TH_ATOMIC_RETURN scope:SCOPE_SYS
	s_wait_loadcnt 0x0
	v_cmp_ne_u64_e32 vcc_lo, v[20:21], v[22:23]
	s_and_b32 exec_lo, exec_lo, vcc_lo
	s_cbranch_execz .LBB0_566
; %bb.564:                              ;   in Loop: Header=BB0_137 Depth=1
	s_mov_b32 s30, 0
.LBB0_565:                              ;   Parent Loop BB0_137 Depth=1
                                        ; =>  This Inner Loop Header: Depth=2
	v_dual_mov_b32 v18, s0 :: v_dual_mov_b32 v19, s1
	s_sleep 1
	global_store_b64 v[8:9], v[20:21], off
	global_wb scope:SCOPE_SYS
	s_wait_storecnt 0x0
	s_wait_xcnt 0x0
	global_atomic_cmpswap_b64 v[18:19], v3, v[18:21], s[16:17] offset:24 th:TH_ATOMIC_RETURN scope:SCOPE_SYS
	s_wait_loadcnt 0x0
	v_cmp_eq_u64_e32 vcc_lo, v[18:19], v[20:21]
	v_mov_b64_e32 v[20:21], v[18:19]
	s_or_b32 s30, vcc_lo, s30
	s_delay_alu instid0(SALU_CYCLE_1)
	s_and_not1_b32 exec_lo, exec_lo, s30
	s_cbranch_execnz .LBB0_565
.LBB0_566:                              ;   in Loop: Header=BB0_137 Depth=1
	s_or_b32 exec_lo, exec_lo, s34
	v_readfirstlane_b32 s0, v46
	v_mov_b64_e32 v[8:9], 0
	s_delay_alu instid0(VALU_DEP_2)
	v_cmp_eq_u32_e64 s0, s0, v46
	s_and_saveexec_b32 s1, s0
	s_cbranch_execz .LBB0_572
; %bb.567:                              ;   in Loop: Header=BB0_137 Depth=1
	global_load_b64 v[20:21], v3, s[16:17] offset:24 scope:SCOPE_SYS
	s_wait_loadcnt 0x0
	global_inv scope:SCOPE_SYS
	s_clause 0x1
	global_load_b64 v[8:9], v3, s[16:17] offset:40
	global_load_b64 v[18:19], v3, s[16:17]
	s_mov_b32 s30, exec_lo
	s_wait_loadcnt 0x1
	v_and_b32_e32 v8, v8, v20
	v_and_b32_e32 v9, v9, v21
	s_delay_alu instid0(VALU_DEP_1) | instskip(SKIP_1) | instid1(VALU_DEP_1)
	v_mul_u64_e32 v[8:9], 24, v[8:9]
	s_wait_loadcnt 0x0
	v_add_nc_u64_e32 v[8:9], v[18:19], v[8:9]
	global_load_b64 v[18:19], v[8:9], off scope:SCOPE_SYS
	s_wait_xcnt 0x0
	s_wait_loadcnt 0x0
	global_atomic_cmpswap_b64 v[8:9], v3, v[18:21], s[16:17] offset:24 th:TH_ATOMIC_RETURN scope:SCOPE_SYS
	s_wait_loadcnt 0x0
	global_inv scope:SCOPE_SYS
	s_wait_xcnt 0x0
	v_cmpx_ne_u64_e64 v[8:9], v[20:21]
	s_cbranch_execz .LBB0_571
; %bb.568:                              ;   in Loop: Header=BB0_137 Depth=1
	s_mov_b32 s31, 0
.LBB0_569:                              ;   Parent Loop BB0_137 Depth=1
                                        ; =>  This Inner Loop Header: Depth=2
	s_sleep 1
	s_clause 0x1
	global_load_b64 v[18:19], v3, s[16:17] offset:40
	global_load_b64 v[22:23], v3, s[16:17]
	v_mov_b64_e32 v[20:21], v[8:9]
	s_wait_loadcnt 0x1
	s_delay_alu instid0(VALU_DEP_1) | instskip(SKIP_1) | instid1(VALU_DEP_1)
	v_and_b32_e32 v1, v18, v20
	s_wait_loadcnt 0x0
	v_mad_nc_u64_u32 v[8:9], v1, 24, v[22:23]
	s_delay_alu instid0(VALU_DEP_3) | instskip(NEXT) | instid1(VALU_DEP_1)
	v_and_b32_e32 v1, v19, v21
	v_mad_u32 v9, v1, 24, v9
	global_load_b64 v[18:19], v[8:9], off scope:SCOPE_SYS
	s_wait_xcnt 0x0
	s_wait_loadcnt 0x0
	global_atomic_cmpswap_b64 v[8:9], v3, v[18:21], s[16:17] offset:24 th:TH_ATOMIC_RETURN scope:SCOPE_SYS
	s_wait_loadcnt 0x0
	global_inv scope:SCOPE_SYS
	v_cmp_eq_u64_e32 vcc_lo, v[8:9], v[20:21]
	s_or_b32 s31, vcc_lo, s31
	s_wait_xcnt 0x0
	s_and_not1_b32 exec_lo, exec_lo, s31
	s_cbranch_execnz .LBB0_569
; %bb.570:                              ;   in Loop: Header=BB0_137 Depth=1
	s_or_b32 exec_lo, exec_lo, s31
.LBB0_571:                              ;   in Loop: Header=BB0_137 Depth=1
	s_delay_alu instid0(SALU_CYCLE_1)
	s_or_b32 exec_lo, exec_lo, s30
.LBB0_572:                              ;   in Loop: Header=BB0_137 Depth=1
	s_delay_alu instid0(SALU_CYCLE_1)
	s_or_b32 exec_lo, exec_lo, s1
	s_clause 0x1
	global_load_b64 v[22:23], v3, s[16:17] offset:40
	global_load_b128 v[18:21], v3, s[16:17]
	v_readfirstlane_b32 s30, v8
	v_readfirstlane_b32 s31, v9
	s_mov_b32 s1, exec_lo
	s_wait_loadcnt 0x1
	v_and_b32_e32 v8, s30, v22
	v_and_b32_e32 v9, s31, v23
	s_delay_alu instid0(VALU_DEP_1) | instskip(SKIP_1) | instid1(VALU_DEP_1)
	v_mul_u64_e32 v[22:23], 24, v[8:9]
	s_wait_loadcnt 0x0
	v_add_nc_u64_e32 v[22:23], v[18:19], v[22:23]
	s_wait_xcnt 0x0
	s_and_saveexec_b32 s34, s0
	s_cbranch_execz .LBB0_574
; %bb.573:                              ;   in Loop: Header=BB0_137 Depth=1
	v_mov_b32_e32 v2, s1
	global_store_b128 v[22:23], v[2:5], off offset:8
.LBB0_574:                              ;   in Loop: Header=BB0_137 Depth=1
	s_wait_xcnt 0x0
	s_or_b32 exec_lo, exec_lo, s34
	v_lshlrev_b64_e32 v[8:9], 12, v[8:9]
	v_mov_b64_e32 v[28:29], s[10:11]
	v_mov_b64_e32 v[26:27], s[8:9]
	v_mov_b32_e32 v7, v3
	s_delay_alu instid0(VALU_DEP_4) | instskip(SKIP_1) | instid1(VALU_DEP_2)
	v_add_nc_u64_e32 v[24:25], v[20:21], v[8:9]
	v_dual_mov_b32 v8, v3 :: v_dual_mov_b32 v9, v3
	v_readfirstlane_b32 s34, v24
	s_delay_alu instid0(VALU_DEP_3)
	v_readfirstlane_b32 s35, v25
	s_clause 0x3
	global_store_b128 v0, v[6:9], s[34:35]
	global_store_b128 v0, v[26:29], s[34:35] offset:16
	global_store_b128 v0, v[26:29], s[34:35] offset:32
	;; [unrolled: 1-line block ×3, first 2 shown]
	s_wait_xcnt 0x0
	s_and_saveexec_b32 s1, s0
	s_cbranch_execz .LBB0_582
; %bb.575:                              ;   in Loop: Header=BB0_137 Depth=1
	s_clause 0x1
	global_load_b64 v[28:29], v3, s[16:17] offset:32 scope:SCOPE_SYS
	global_load_b64 v[8:9], v3, s[16:17] offset:40
	s_mov_b32 s34, exec_lo
	v_dual_mov_b32 v26, s30 :: v_dual_mov_b32 v27, s31
	s_wait_loadcnt 0x0
	v_and_b32_e32 v9, s31, v9
	v_and_b32_e32 v8, s30, v8
	s_delay_alu instid0(VALU_DEP_1) | instskip(NEXT) | instid1(VALU_DEP_1)
	v_mul_u64_e32 v[8:9], 24, v[8:9]
	v_add_nc_u64_e32 v[8:9], v[18:19], v[8:9]
	global_store_b64 v[8:9], v[28:29], off
	global_wb scope:SCOPE_SYS
	s_wait_storecnt 0x0
	s_wait_xcnt 0x0
	global_atomic_cmpswap_b64 v[20:21], v3, v[26:29], s[16:17] offset:32 th:TH_ATOMIC_RETURN scope:SCOPE_SYS
	s_wait_loadcnt 0x0
	v_cmpx_ne_u64_e64 v[20:21], v[28:29]
	s_cbranch_execz .LBB0_578
; %bb.576:                              ;   in Loop: Header=BB0_137 Depth=1
	s_mov_b32 s35, 0
.LBB0_577:                              ;   Parent Loop BB0_137 Depth=1
                                        ; =>  This Inner Loop Header: Depth=2
	v_dual_mov_b32 v18, s30 :: v_dual_mov_b32 v19, s31
	s_sleep 1
	global_store_b64 v[8:9], v[20:21], off
	global_wb scope:SCOPE_SYS
	s_wait_storecnt 0x0
	s_wait_xcnt 0x0
	global_atomic_cmpswap_b64 v[18:19], v3, v[18:21], s[16:17] offset:32 th:TH_ATOMIC_RETURN scope:SCOPE_SYS
	s_wait_loadcnt 0x0
	v_cmp_eq_u64_e32 vcc_lo, v[18:19], v[20:21]
	v_mov_b64_e32 v[20:21], v[18:19]
	s_or_b32 s35, vcc_lo, s35
	s_delay_alu instid0(SALU_CYCLE_1)
	s_and_not1_b32 exec_lo, exec_lo, s35
	s_cbranch_execnz .LBB0_577
.LBB0_578:                              ;   in Loop: Header=BB0_137 Depth=1
	s_or_b32 exec_lo, exec_lo, s34
	global_load_b64 v[8:9], v3, s[16:17] offset:16
	s_mov_b32 s35, exec_lo
	s_mov_b32 s34, exec_lo
	v_mbcnt_lo_u32_b32 v1, s35, 0
	s_wait_xcnt 0x0
	s_delay_alu instid0(VALU_DEP_1)
	v_cmpx_eq_u32_e32 0, v1
	s_cbranch_execz .LBB0_580
; %bb.579:                              ;   in Loop: Header=BB0_137 Depth=1
	s_bcnt1_i32_b32 s35, s35
	s_delay_alu instid0(SALU_CYCLE_1)
	v_mov_b32_e32 v2, s35
	global_wb scope:SCOPE_SYS
	s_wait_loadcnt 0x0
	s_wait_storecnt 0x0
	global_atomic_add_u64 v[8:9], v[2:3], off offset:8 scope:SCOPE_SYS
.LBB0_580:                              ;   in Loop: Header=BB0_137 Depth=1
	s_wait_xcnt 0x0
	s_or_b32 exec_lo, exec_lo, s34
	s_wait_loadcnt 0x0
	global_load_b64 v[18:19], v[8:9], off offset:16
	s_wait_loadcnt 0x0
	v_cmp_eq_u64_e32 vcc_lo, 0, v[18:19]
	s_cbranch_vccnz .LBB0_582
; %bb.581:                              ;   in Loop: Header=BB0_137 Depth=1
	global_load_b32 v2, v[8:9], off offset:24
	s_wait_loadcnt 0x0
	v_readfirstlane_b32 s34, v2
	global_wb scope:SCOPE_SYS
	s_wait_storecnt 0x0
	s_wait_xcnt 0x0
	global_store_b64 v[18:19], v[2:3], off scope:SCOPE_SYS
	s_and_b32 m0, s34, 0xffffff
	s_sendmsg sendmsg(MSG_INTERRUPT)
.LBB0_582:                              ;   in Loop: Header=BB0_137 Depth=1
	s_wait_xcnt 0x0
	s_or_b32 exec_lo, exec_lo, s1
	v_mov_b32_e32 v1, v3
	s_delay_alu instid0(VALU_DEP_1)
	v_add_nc_u64_e32 v[8:9], v[24:25], v[0:1]
	s_branch .LBB0_586
.LBB0_583:                              ;   in Loop: Header=BB0_586 Depth=2
	s_wait_xcnt 0x0
	s_or_b32 exec_lo, exec_lo, s1
	s_delay_alu instid0(VALU_DEP_1)
	v_readfirstlane_b32 s1, v1
	s_cmp_eq_u32 s1, 0
	s_cbranch_scc1 .LBB0_585
; %bb.584:                              ;   in Loop: Header=BB0_586 Depth=2
	s_sleep 1
	s_cbranch_execnz .LBB0_586
	s_branch .LBB0_588
.LBB0_585:                              ;   in Loop: Header=BB0_137 Depth=1
	s_branch .LBB0_588
.LBB0_586:                              ;   Parent Loop BB0_137 Depth=1
                                        ; =>  This Inner Loop Header: Depth=2
	v_mov_b32_e32 v1, 1
	s_and_saveexec_b32 s1, s0
	s_cbranch_execz .LBB0_583
; %bb.587:                              ;   in Loop: Header=BB0_586 Depth=2
	global_load_b32 v1, v[22:23], off offset:20 scope:SCOPE_SYS
	s_wait_loadcnt 0x0
	global_inv scope:SCOPE_SYS
	v_and_b32_e32 v1, 1, v1
	s_branch .LBB0_583
.LBB0_588:                              ;   in Loop: Header=BB0_137 Depth=1
	global_load_b64 v[22:23], v[8:9], off
	s_wait_xcnt 0x0
	s_and_saveexec_b32 s34, s0
	s_cbranch_execz .LBB0_592
; %bb.589:                              ;   in Loop: Header=BB0_137 Depth=1
	s_clause 0x2
	global_load_b64 v[8:9], v3, s[16:17] offset:40
	global_load_b64 v[26:27], v3, s[16:17] offset:24 scope:SCOPE_SYS
	global_load_b64 v[18:19], v3, s[16:17]
	s_wait_loadcnt 0x2
	v_readfirstlane_b32 s36, v8
	v_readfirstlane_b32 s37, v9
	s_add_nc_u64 s[0:1], s[36:37], 1
	s_delay_alu instid0(SALU_CYCLE_1) | instskip(NEXT) | instid1(SALU_CYCLE_1)
	s_add_nc_u64 s[30:31], s[0:1], s[30:31]
	s_cmp_eq_u64 s[30:31], 0
	s_cselect_b32 s1, s1, s31
	s_cselect_b32 s0, s0, s30
	s_delay_alu instid0(SALU_CYCLE_1) | instskip(SKIP_1) | instid1(SALU_CYCLE_1)
	v_dual_mov_b32 v25, s1 :: v_dual_mov_b32 v24, s0
	s_and_b64 s[30:31], s[0:1], s[36:37]
	s_mul_u64 s[30:31], s[30:31], 24
	s_wait_loadcnt 0x0
	v_add_nc_u64_e32 v[8:9], s[30:31], v[18:19]
	global_store_b64 v[8:9], v[26:27], off
	global_wb scope:SCOPE_SYS
	s_wait_storecnt 0x0
	s_wait_xcnt 0x0
	global_atomic_cmpswap_b64 v[20:21], v3, v[24:27], s[16:17] offset:24 th:TH_ATOMIC_RETURN scope:SCOPE_SYS
	s_wait_loadcnt 0x0
	v_cmp_ne_u64_e32 vcc_lo, v[20:21], v[26:27]
	s_and_b32 exec_lo, exec_lo, vcc_lo
	s_cbranch_execz .LBB0_592
; %bb.590:                              ;   in Loop: Header=BB0_137 Depth=1
	s_mov_b32 s30, 0
.LBB0_591:                              ;   Parent Loop BB0_137 Depth=1
                                        ; =>  This Inner Loop Header: Depth=2
	v_dual_mov_b32 v18, s0 :: v_dual_mov_b32 v19, s1
	s_sleep 1
	global_store_b64 v[8:9], v[20:21], off
	global_wb scope:SCOPE_SYS
	s_wait_storecnt 0x0
	s_wait_xcnt 0x0
	global_atomic_cmpswap_b64 v[18:19], v3, v[18:21], s[16:17] offset:24 th:TH_ATOMIC_RETURN scope:SCOPE_SYS
	s_wait_loadcnt 0x0
	v_cmp_eq_u64_e32 vcc_lo, v[18:19], v[20:21]
	v_mov_b64_e32 v[20:21], v[18:19]
	s_or_b32 s30, vcc_lo, s30
	s_delay_alu instid0(SALU_CYCLE_1)
	s_and_not1_b32 exec_lo, exec_lo, s30
	s_cbranch_execnz .LBB0_591
.LBB0_592:                              ;   in Loop: Header=BB0_137 Depth=1
	s_or_b32 exec_lo, exec_lo, s34
	s_delay_alu instid0(SALU_CYCLE_1)
	s_and_b32 vcc_lo, exec_lo, s42
	s_cbranch_vccz .LBB0_671
; %bb.593:                              ;   in Loop: Header=BB0_137 Depth=1
	s_wait_loadcnt 0x0
	v_dual_mov_b32 v19, v23 :: v_dual_bitop2_b32 v8, 2, v22 bitop3:0x40
	v_and_b32_e32 v18, -3, v22
	s_mov_b64 s[30:31], 6
	s_mov_b64 s[34:35], s[28:29]
	s_branch .LBB0_595
.LBB0_594:                              ;   in Loop: Header=BB0_595 Depth=2
	s_or_b32 exec_lo, exec_lo, s40
	s_sub_nc_u64 s[30:31], s[30:31], s[36:37]
	s_add_nc_u64 s[34:35], s[34:35], s[36:37]
	s_cmp_lg_u64 s[30:31], 0
	s_cbranch_scc0 .LBB0_670
.LBB0_595:                              ;   Parent Loop BB0_137 Depth=1
                                        ; =>  This Loop Header: Depth=2
                                        ;       Child Loop BB0_598 Depth 3
                                        ;       Child Loop BB0_605 Depth 3
	;; [unrolled: 1-line block ×11, first 2 shown]
	v_min_u64 v[20:21], s[30:31], 56
	v_cmp_gt_u64_e64 s0, s[30:31], 7
	s_and_b32 vcc_lo, exec_lo, s0
	v_readfirstlane_b32 s36, v20
	v_readfirstlane_b32 s37, v21
	s_cbranch_vccnz .LBB0_600
; %bb.596:                              ;   in Loop: Header=BB0_595 Depth=2
	v_mov_b64_e32 v[20:21], 0
	s_cmp_eq_u64 s[30:31], 0
	s_cbranch_scc1 .LBB0_599
; %bb.597:                              ;   in Loop: Header=BB0_595 Depth=2
	s_mov_b64 s[0:1], 0
	s_mov_b64 s[38:39], 0
.LBB0_598:                              ;   Parent Loop BB0_137 Depth=1
                                        ;     Parent Loop BB0_595 Depth=2
                                        ; =>    This Inner Loop Header: Depth=3
	s_wait_xcnt 0x0
	s_add_nc_u64 s[40:41], s[34:35], s[38:39]
	s_add_nc_u64 s[38:39], s[38:39], 1
	global_load_u8 v1, v3, s[40:41]
	s_cmp_lg_u32 s36, s38
	s_wait_loadcnt 0x0
	v_and_b32_e32 v2, 0xffff, v1
	s_delay_alu instid0(VALU_DEP_1) | instskip(SKIP_1) | instid1(VALU_DEP_1)
	v_lshlrev_b64_e32 v[24:25], s0, v[2:3]
	s_add_nc_u64 s[0:1], s[0:1], 8
	v_or_b32_e32 v20, v24, v20
	s_delay_alu instid0(VALU_DEP_2)
	v_or_b32_e32 v21, v25, v21
	s_cbranch_scc1 .LBB0_598
.LBB0_599:                              ;   in Loop: Header=BB0_595 Depth=2
	s_mov_b64 s[0:1], s[34:35]
	s_mov_b32 s44, 0
	s_cbranch_execz .LBB0_601
	s_branch .LBB0_602
.LBB0_600:                              ;   in Loop: Header=BB0_595 Depth=2
	s_add_nc_u64 s[0:1], s[34:35], 8
	s_mov_b32 s44, 0
.LBB0_601:                              ;   in Loop: Header=BB0_595 Depth=2
	global_load_b64 v[20:21], v3, s[34:35]
	s_add_co_i32 s44, s36, -8
.LBB0_602:                              ;   in Loop: Header=BB0_595 Depth=2
	s_delay_alu instid0(SALU_CYCLE_1)
	s_cmp_gt_u32 s44, 7
	s_cbranch_scc1 .LBB0_607
; %bb.603:                              ;   in Loop: Header=BB0_595 Depth=2
	v_mov_b64_e32 v[24:25], 0
	s_cmp_eq_u32 s44, 0
	s_cbranch_scc1 .LBB0_606
; %bb.604:                              ;   in Loop: Header=BB0_595 Depth=2
	s_mov_b64 s[38:39], 0
	s_wait_xcnt 0x0
	s_mov_b64 s[40:41], 0
.LBB0_605:                              ;   Parent Loop BB0_137 Depth=1
                                        ;     Parent Loop BB0_595 Depth=2
                                        ; =>    This Inner Loop Header: Depth=3
	s_wait_xcnt 0x0
	s_add_nc_u64 s[46:47], s[0:1], s[40:41]
	s_add_nc_u64 s[40:41], s[40:41], 1
	global_load_u8 v1, v3, s[46:47]
	s_cmp_lg_u32 s44, s40
	s_wait_loadcnt 0x0
	v_and_b32_e32 v2, 0xffff, v1
	s_delay_alu instid0(VALU_DEP_1) | instskip(SKIP_1) | instid1(VALU_DEP_1)
	v_lshlrev_b64_e32 v[26:27], s38, v[2:3]
	s_add_nc_u64 s[38:39], s[38:39], 8
	v_or_b32_e32 v24, v26, v24
	s_delay_alu instid0(VALU_DEP_2)
	v_or_b32_e32 v25, v27, v25
	s_cbranch_scc1 .LBB0_605
.LBB0_606:                              ;   in Loop: Header=BB0_595 Depth=2
	s_wait_xcnt 0x0
	s_mov_b64 s[38:39], s[0:1]
	s_mov_b32 s45, 0
	s_cbranch_execz .LBB0_608
	s_branch .LBB0_609
.LBB0_607:                              ;   in Loop: Header=BB0_595 Depth=2
	s_add_nc_u64 s[38:39], s[0:1], 8
	s_wait_xcnt 0x0
                                        ; implicit-def: $vgpr24_vgpr25
	s_mov_b32 s45, 0
.LBB0_608:                              ;   in Loop: Header=BB0_595 Depth=2
	global_load_b64 v[24:25], v3, s[0:1]
	s_add_co_i32 s45, s44, -8
.LBB0_609:                              ;   in Loop: Header=BB0_595 Depth=2
	s_delay_alu instid0(SALU_CYCLE_1)
	s_cmp_gt_u32 s45, 7
	s_cbranch_scc1 .LBB0_614
; %bb.610:                              ;   in Loop: Header=BB0_595 Depth=2
	v_mov_b64_e32 v[26:27], 0
	s_cmp_eq_u32 s45, 0
	s_cbranch_scc1 .LBB0_613
; %bb.611:                              ;   in Loop: Header=BB0_595 Depth=2
	s_wait_xcnt 0x0
	s_mov_b64 s[0:1], 0
	s_mov_b64 s[40:41], 0
.LBB0_612:                              ;   Parent Loop BB0_137 Depth=1
                                        ;     Parent Loop BB0_595 Depth=2
                                        ; =>    This Inner Loop Header: Depth=3
	s_wait_xcnt 0x0
	s_add_nc_u64 s[46:47], s[38:39], s[40:41]
	s_add_nc_u64 s[40:41], s[40:41], 1
	global_load_u8 v1, v3, s[46:47]
	s_cmp_lg_u32 s45, s40
	s_wait_loadcnt 0x0
	v_and_b32_e32 v2, 0xffff, v1
	s_delay_alu instid0(VALU_DEP_1) | instskip(SKIP_1) | instid1(VALU_DEP_1)
	v_lshlrev_b64_e32 v[28:29], s0, v[2:3]
	s_add_nc_u64 s[0:1], s[0:1], 8
	v_or_b32_e32 v26, v28, v26
	s_delay_alu instid0(VALU_DEP_2)
	v_or_b32_e32 v27, v29, v27
	s_cbranch_scc1 .LBB0_612
.LBB0_613:                              ;   in Loop: Header=BB0_595 Depth=2
	s_wait_xcnt 0x0
	s_mov_b64 s[0:1], s[38:39]
	s_mov_b32 s44, 0
	s_cbranch_execz .LBB0_615
	s_branch .LBB0_616
.LBB0_614:                              ;   in Loop: Header=BB0_595 Depth=2
	s_wait_xcnt 0x0
	s_add_nc_u64 s[0:1], s[38:39], 8
	s_mov_b32 s44, 0
.LBB0_615:                              ;   in Loop: Header=BB0_595 Depth=2
	global_load_b64 v[26:27], v3, s[38:39]
	s_add_co_i32 s44, s45, -8
.LBB0_616:                              ;   in Loop: Header=BB0_595 Depth=2
	s_delay_alu instid0(SALU_CYCLE_1)
	s_cmp_gt_u32 s44, 7
	s_cbranch_scc1 .LBB0_621
; %bb.617:                              ;   in Loop: Header=BB0_595 Depth=2
	v_mov_b64_e32 v[28:29], 0
	s_cmp_eq_u32 s44, 0
	s_cbranch_scc1 .LBB0_620
; %bb.618:                              ;   in Loop: Header=BB0_595 Depth=2
	s_wait_xcnt 0x0
	s_mov_b64 s[38:39], 0
	s_mov_b64 s[40:41], 0
.LBB0_619:                              ;   Parent Loop BB0_137 Depth=1
                                        ;     Parent Loop BB0_595 Depth=2
                                        ; =>    This Inner Loop Header: Depth=3
	s_wait_xcnt 0x0
	s_add_nc_u64 s[46:47], s[0:1], s[40:41]
	s_add_nc_u64 s[40:41], s[40:41], 1
	global_load_u8 v1, v3, s[46:47]
	s_cmp_lg_u32 s44, s40
	s_wait_loadcnt 0x0
	v_and_b32_e32 v2, 0xffff, v1
	s_delay_alu instid0(VALU_DEP_1) | instskip(SKIP_1) | instid1(VALU_DEP_1)
	v_lshlrev_b64_e32 v[30:31], s38, v[2:3]
	s_add_nc_u64 s[38:39], s[38:39], 8
	v_or_b32_e32 v28, v30, v28
	s_delay_alu instid0(VALU_DEP_2)
	v_or_b32_e32 v29, v31, v29
	s_cbranch_scc1 .LBB0_619
.LBB0_620:                              ;   in Loop: Header=BB0_595 Depth=2
	s_wait_xcnt 0x0
	s_mov_b64 s[38:39], s[0:1]
	s_mov_b32 s45, 0
	s_cbranch_execz .LBB0_622
	s_branch .LBB0_623
.LBB0_621:                              ;   in Loop: Header=BB0_595 Depth=2
	s_wait_xcnt 0x0
	s_add_nc_u64 s[38:39], s[0:1], 8
                                        ; implicit-def: $vgpr28_vgpr29
	s_mov_b32 s45, 0
.LBB0_622:                              ;   in Loop: Header=BB0_595 Depth=2
	global_load_b64 v[28:29], v3, s[0:1]
	s_add_co_i32 s45, s44, -8
.LBB0_623:                              ;   in Loop: Header=BB0_595 Depth=2
	s_delay_alu instid0(SALU_CYCLE_1)
	s_cmp_gt_u32 s45, 7
	s_cbranch_scc1 .LBB0_628
; %bb.624:                              ;   in Loop: Header=BB0_595 Depth=2
	v_mov_b64_e32 v[30:31], 0
	s_cmp_eq_u32 s45, 0
	s_cbranch_scc1 .LBB0_627
; %bb.625:                              ;   in Loop: Header=BB0_595 Depth=2
	s_wait_xcnt 0x0
	s_mov_b64 s[0:1], 0
	s_mov_b64 s[40:41], 0
.LBB0_626:                              ;   Parent Loop BB0_137 Depth=1
                                        ;     Parent Loop BB0_595 Depth=2
                                        ; =>    This Inner Loop Header: Depth=3
	s_wait_xcnt 0x0
	s_add_nc_u64 s[46:47], s[38:39], s[40:41]
	s_add_nc_u64 s[40:41], s[40:41], 1
	global_load_u8 v1, v3, s[46:47]
	s_cmp_lg_u32 s45, s40
	s_wait_loadcnt 0x0
	v_and_b32_e32 v2, 0xffff, v1
	s_delay_alu instid0(VALU_DEP_1) | instskip(SKIP_1) | instid1(VALU_DEP_1)
	v_lshlrev_b64_e32 v[32:33], s0, v[2:3]
	s_add_nc_u64 s[0:1], s[0:1], 8
	v_or_b32_e32 v30, v32, v30
	s_delay_alu instid0(VALU_DEP_2)
	v_or_b32_e32 v31, v33, v31
	s_cbranch_scc1 .LBB0_626
.LBB0_627:                              ;   in Loop: Header=BB0_595 Depth=2
	s_wait_xcnt 0x0
	s_mov_b64 s[0:1], s[38:39]
	s_mov_b32 s44, 0
	s_cbranch_execz .LBB0_629
	s_branch .LBB0_630
.LBB0_628:                              ;   in Loop: Header=BB0_595 Depth=2
	s_wait_xcnt 0x0
	s_add_nc_u64 s[0:1], s[38:39], 8
	s_mov_b32 s44, 0
.LBB0_629:                              ;   in Loop: Header=BB0_595 Depth=2
	global_load_b64 v[30:31], v3, s[38:39]
	s_add_co_i32 s44, s45, -8
.LBB0_630:                              ;   in Loop: Header=BB0_595 Depth=2
	s_delay_alu instid0(SALU_CYCLE_1)
	s_cmp_gt_u32 s44, 7
	s_cbranch_scc1 .LBB0_635
; %bb.631:                              ;   in Loop: Header=BB0_595 Depth=2
	v_mov_b64_e32 v[32:33], 0
	s_cmp_eq_u32 s44, 0
	s_cbranch_scc1 .LBB0_634
; %bb.632:                              ;   in Loop: Header=BB0_595 Depth=2
	s_wait_xcnt 0x0
	s_mov_b64 s[38:39], 0
	s_mov_b64 s[40:41], 0
.LBB0_633:                              ;   Parent Loop BB0_137 Depth=1
                                        ;     Parent Loop BB0_595 Depth=2
                                        ; =>    This Inner Loop Header: Depth=3
	s_wait_xcnt 0x0
	s_add_nc_u64 s[46:47], s[0:1], s[40:41]
	s_add_nc_u64 s[40:41], s[40:41], 1
	global_load_u8 v1, v3, s[46:47]
	s_cmp_lg_u32 s44, s40
	s_wait_loadcnt 0x0
	v_and_b32_e32 v2, 0xffff, v1
	s_delay_alu instid0(VALU_DEP_1) | instskip(SKIP_1) | instid1(VALU_DEP_1)
	v_lshlrev_b64_e32 v[34:35], s38, v[2:3]
	s_add_nc_u64 s[38:39], s[38:39], 8
	v_or_b32_e32 v32, v34, v32
	s_delay_alu instid0(VALU_DEP_2)
	v_or_b32_e32 v33, v35, v33
	s_cbranch_scc1 .LBB0_633
.LBB0_634:                              ;   in Loop: Header=BB0_595 Depth=2
	s_wait_xcnt 0x0
	s_mov_b64 s[38:39], s[0:1]
	s_mov_b32 s45, 0
	s_cbranch_execz .LBB0_636
	s_branch .LBB0_637
.LBB0_635:                              ;   in Loop: Header=BB0_595 Depth=2
	s_wait_xcnt 0x0
	s_add_nc_u64 s[38:39], s[0:1], 8
                                        ; implicit-def: $vgpr32_vgpr33
	s_mov_b32 s45, 0
.LBB0_636:                              ;   in Loop: Header=BB0_595 Depth=2
	global_load_b64 v[32:33], v3, s[0:1]
	s_add_co_i32 s45, s44, -8
.LBB0_637:                              ;   in Loop: Header=BB0_595 Depth=2
	s_delay_alu instid0(SALU_CYCLE_1)
	s_cmp_gt_u32 s45, 7
	s_cbranch_scc1 .LBB0_642
; %bb.638:                              ;   in Loop: Header=BB0_595 Depth=2
	v_mov_b64_e32 v[34:35], 0
	s_cmp_eq_u32 s45, 0
	s_cbranch_scc1 .LBB0_641
; %bb.639:                              ;   in Loop: Header=BB0_595 Depth=2
	s_wait_xcnt 0x0
	s_mov_b64 s[0:1], 0
	s_mov_b64 s[40:41], s[38:39]
.LBB0_640:                              ;   Parent Loop BB0_137 Depth=1
                                        ;     Parent Loop BB0_595 Depth=2
                                        ; =>    This Inner Loop Header: Depth=3
	global_load_u8 v1, v3, s[40:41]
	s_add_co_i32 s45, s45, -1
	s_wait_xcnt 0x0
	s_add_nc_u64 s[40:41], s[40:41], 1
	s_cmp_lg_u32 s45, 0
	s_wait_loadcnt 0x0
	v_and_b32_e32 v2, 0xffff, v1
	s_delay_alu instid0(VALU_DEP_1) | instskip(SKIP_1) | instid1(VALU_DEP_1)
	v_lshlrev_b64_e32 v[36:37], s0, v[2:3]
	s_add_nc_u64 s[0:1], s[0:1], 8
	v_or_b32_e32 v34, v36, v34
	s_delay_alu instid0(VALU_DEP_2)
	v_or_b32_e32 v35, v37, v35
	s_cbranch_scc1 .LBB0_640
.LBB0_641:                              ;   in Loop: Header=BB0_595 Depth=2
	s_wait_xcnt 0x0
	s_cbranch_execz .LBB0_643
	s_branch .LBB0_644
.LBB0_642:                              ;   in Loop: Header=BB0_595 Depth=2
	s_wait_xcnt 0x0
.LBB0_643:                              ;   in Loop: Header=BB0_595 Depth=2
	global_load_b64 v[34:35], v3, s[38:39]
.LBB0_644:                              ;   in Loop: Header=BB0_595 Depth=2
	v_readfirstlane_b32 s0, v46
	v_mov_b64_e32 v[42:43], 0
	s_delay_alu instid0(VALU_DEP_2)
	v_cmp_eq_u32_e64 s0, s0, v46
	s_wait_xcnt 0x0
	s_and_saveexec_b32 s1, s0
	s_cbranch_execz .LBB0_650
; %bb.645:                              ;   in Loop: Header=BB0_595 Depth=2
	global_load_b64 v[38:39], v3, s[16:17] offset:24 scope:SCOPE_SYS
	s_wait_loadcnt 0x0
	global_inv scope:SCOPE_SYS
	s_clause 0x1
	global_load_b64 v[36:37], v3, s[16:17] offset:40
	global_load_b64 v[42:43], v3, s[16:17]
	s_mov_b32 s38, exec_lo
	s_wait_loadcnt 0x1
	v_and_b32_e32 v36, v36, v38
	v_and_b32_e32 v37, v37, v39
	s_delay_alu instid0(VALU_DEP_1) | instskip(SKIP_1) | instid1(VALU_DEP_1)
	v_mul_u64_e32 v[36:37], 24, v[36:37]
	s_wait_loadcnt 0x0
	v_add_nc_u64_e32 v[36:37], v[42:43], v[36:37]
	global_load_b64 v[36:37], v[36:37], off scope:SCOPE_SYS
	s_wait_xcnt 0x0
	s_wait_loadcnt 0x0
	global_atomic_cmpswap_b64 v[42:43], v3, v[36:39], s[16:17] offset:24 th:TH_ATOMIC_RETURN scope:SCOPE_SYS
	s_wait_loadcnt 0x0
	global_inv scope:SCOPE_SYS
	s_wait_xcnt 0x0
	v_cmpx_ne_u64_e64 v[42:43], v[38:39]
	s_cbranch_execz .LBB0_649
; %bb.646:                              ;   in Loop: Header=BB0_595 Depth=2
	s_mov_b32 s39, 0
.LBB0_647:                              ;   Parent Loop BB0_137 Depth=1
                                        ;     Parent Loop BB0_595 Depth=2
                                        ; =>    This Inner Loop Header: Depth=3
	s_sleep 1
	s_clause 0x1
	global_load_b64 v[36:37], v3, s[16:17] offset:40
	global_load_b64 v[44:45], v3, s[16:17]
	v_mov_b64_e32 v[38:39], v[42:43]
	s_wait_loadcnt 0x1
	s_delay_alu instid0(VALU_DEP_1) | instskip(SKIP_1) | instid1(VALU_DEP_1)
	v_and_b32_e32 v1, v36, v38
	s_wait_loadcnt 0x0
	v_mad_nc_u64_u32 v[42:43], v1, 24, v[44:45]
	s_delay_alu instid0(VALU_DEP_3) | instskip(NEXT) | instid1(VALU_DEP_1)
	v_and_b32_e32 v1, v37, v39
	v_mad_u32 v43, v1, 24, v43
	global_load_b64 v[36:37], v[42:43], off scope:SCOPE_SYS
	s_wait_xcnt 0x0
	s_wait_loadcnt 0x0
	global_atomic_cmpswap_b64 v[42:43], v3, v[36:39], s[16:17] offset:24 th:TH_ATOMIC_RETURN scope:SCOPE_SYS
	s_wait_loadcnt 0x0
	global_inv scope:SCOPE_SYS
	v_cmp_eq_u64_e32 vcc_lo, v[42:43], v[38:39]
	s_or_b32 s39, vcc_lo, s39
	s_wait_xcnt 0x0
	s_and_not1_b32 exec_lo, exec_lo, s39
	s_cbranch_execnz .LBB0_647
; %bb.648:                              ;   in Loop: Header=BB0_595 Depth=2
	s_or_b32 exec_lo, exec_lo, s39
.LBB0_649:                              ;   in Loop: Header=BB0_595 Depth=2
	s_delay_alu instid0(SALU_CYCLE_1)
	s_or_b32 exec_lo, exec_lo, s38
.LBB0_650:                              ;   in Loop: Header=BB0_595 Depth=2
	s_delay_alu instid0(SALU_CYCLE_1)
	s_or_b32 exec_lo, exec_lo, s1
	s_clause 0x1
	global_load_b64 v[44:45], v3, s[16:17] offset:40
	global_load_b128 v[36:39], v3, s[16:17]
	v_readfirstlane_b32 s38, v42
	v_readfirstlane_b32 s39, v43
	s_mov_b32 s1, exec_lo
	s_wait_loadcnt 0x1
	v_and_b32_e32 v44, s38, v44
	v_and_b32_e32 v45, s39, v45
	s_delay_alu instid0(VALU_DEP_1) | instskip(SKIP_1) | instid1(VALU_DEP_1)
	v_mul_u64_e32 v[42:43], 24, v[44:45]
	s_wait_loadcnt 0x0
	v_add_nc_u64_e32 v[42:43], v[36:37], v[42:43]
	s_wait_xcnt 0x0
	s_and_saveexec_b32 s40, s0
	s_cbranch_execz .LBB0_652
; %bb.651:                              ;   in Loop: Header=BB0_595 Depth=2
	v_mov_b32_e32 v2, s1
	global_store_b128 v[42:43], v[2:5], off offset:8
.LBB0_652:                              ;   in Loop: Header=BB0_595 Depth=2
	s_wait_xcnt 0x0
	s_or_b32 exec_lo, exec_lo, s40
	v_cmp_lt_u64_e64 vcc_lo, s[30:31], 57
	v_lshlrev_b64_e32 v[44:45], 12, v[44:45]
	v_and_b32_e32 v2, 0xffffff1f, v18
	s_lshl_b32 s1, s36, 2
	s_delay_alu instid0(SALU_CYCLE_1) | instskip(SKIP_1) | instid1(VALU_DEP_3)
	s_add_co_i32 s1, s1, 28
	v_cndmask_b32_e32 v1, 0, v8, vcc_lo
	v_add_nc_u64_e32 v[38:39], v[38:39], v[44:45]
	s_delay_alu instid0(VALU_DEP_2) | instskip(NEXT) | instid1(VALU_DEP_2)
	v_or_b32_e32 v1, v2, v1
	v_readfirstlane_b32 s40, v38
	s_delay_alu instid0(VALU_DEP_3) | instskip(NEXT) | instid1(VALU_DEP_3)
	v_readfirstlane_b32 s41, v39
	v_and_or_b32 v18, 0x1e0, s1, v1
	s_clause 0x3
	global_store_b128 v0, v[18:21], s[40:41]
	global_store_b128 v0, v[24:27], s[40:41] offset:16
	global_store_b128 v0, v[28:31], s[40:41] offset:32
	;; [unrolled: 1-line block ×3, first 2 shown]
	s_wait_xcnt 0x0
	s_and_saveexec_b32 s1, s0
	s_cbranch_execz .LBB0_660
; %bb.653:                              ;   in Loop: Header=BB0_595 Depth=2
	s_clause 0x1
	global_load_b64 v[28:29], v3, s[16:17] offset:32 scope:SCOPE_SYS
	global_load_b64 v[18:19], v3, s[16:17] offset:40
	s_mov_b32 s40, exec_lo
	v_dual_mov_b32 v26, s38 :: v_dual_mov_b32 v27, s39
	s_wait_loadcnt 0x0
	v_and_b32_e32 v19, s39, v19
	v_and_b32_e32 v18, s38, v18
	s_delay_alu instid0(VALU_DEP_1) | instskip(NEXT) | instid1(VALU_DEP_1)
	v_mul_u64_e32 v[18:19], 24, v[18:19]
	v_add_nc_u64_e32 v[24:25], v[36:37], v[18:19]
	global_store_b64 v[24:25], v[28:29], off
	global_wb scope:SCOPE_SYS
	s_wait_storecnt 0x0
	s_wait_xcnt 0x0
	global_atomic_cmpswap_b64 v[20:21], v3, v[26:29], s[16:17] offset:32 th:TH_ATOMIC_RETURN scope:SCOPE_SYS
	s_wait_loadcnt 0x0
	v_cmpx_ne_u64_e64 v[20:21], v[28:29]
	s_cbranch_execz .LBB0_656
; %bb.654:                              ;   in Loop: Header=BB0_595 Depth=2
	s_mov_b32 s41, 0
.LBB0_655:                              ;   Parent Loop BB0_137 Depth=1
                                        ;     Parent Loop BB0_595 Depth=2
                                        ; =>    This Inner Loop Header: Depth=3
	v_dual_mov_b32 v18, s38 :: v_dual_mov_b32 v19, s39
	s_sleep 1
	global_store_b64 v[24:25], v[20:21], off
	global_wb scope:SCOPE_SYS
	s_wait_storecnt 0x0
	s_wait_xcnt 0x0
	global_atomic_cmpswap_b64 v[18:19], v3, v[18:21], s[16:17] offset:32 th:TH_ATOMIC_RETURN scope:SCOPE_SYS
	s_wait_loadcnt 0x0
	v_cmp_eq_u64_e32 vcc_lo, v[18:19], v[20:21]
	v_mov_b64_e32 v[20:21], v[18:19]
	s_or_b32 s41, vcc_lo, s41
	s_delay_alu instid0(SALU_CYCLE_1)
	s_and_not1_b32 exec_lo, exec_lo, s41
	s_cbranch_execnz .LBB0_655
.LBB0_656:                              ;   in Loop: Header=BB0_595 Depth=2
	s_or_b32 exec_lo, exec_lo, s40
	global_load_b64 v[18:19], v3, s[16:17] offset:16
	s_mov_b32 s41, exec_lo
	s_mov_b32 s40, exec_lo
	v_mbcnt_lo_u32_b32 v1, s41, 0
	s_wait_xcnt 0x0
	s_delay_alu instid0(VALU_DEP_1)
	v_cmpx_eq_u32_e32 0, v1
	s_cbranch_execz .LBB0_658
; %bb.657:                              ;   in Loop: Header=BB0_595 Depth=2
	s_bcnt1_i32_b32 s41, s41
	s_delay_alu instid0(SALU_CYCLE_1)
	v_mov_b32_e32 v2, s41
	global_wb scope:SCOPE_SYS
	s_wait_loadcnt 0x0
	s_wait_storecnt 0x0
	global_atomic_add_u64 v[18:19], v[2:3], off offset:8 scope:SCOPE_SYS
.LBB0_658:                              ;   in Loop: Header=BB0_595 Depth=2
	s_wait_xcnt 0x0
	s_or_b32 exec_lo, exec_lo, s40
	s_wait_loadcnt 0x0
	global_load_b64 v[20:21], v[18:19], off offset:16
	s_wait_loadcnt 0x0
	v_cmp_eq_u64_e32 vcc_lo, 0, v[20:21]
	s_cbranch_vccnz .LBB0_660
; %bb.659:                              ;   in Loop: Header=BB0_595 Depth=2
	global_load_b32 v2, v[18:19], off offset:24
	s_wait_loadcnt 0x0
	v_readfirstlane_b32 s40, v2
	global_wb scope:SCOPE_SYS
	s_wait_storecnt 0x0
	s_wait_xcnt 0x0
	global_store_b64 v[20:21], v[2:3], off scope:SCOPE_SYS
	s_and_b32 m0, s40, 0xffffff
	s_sendmsg sendmsg(MSG_INTERRUPT)
.LBB0_660:                              ;   in Loop: Header=BB0_595 Depth=2
	s_wait_xcnt 0x0
	s_or_b32 exec_lo, exec_lo, s1
	v_mov_b32_e32 v1, v3
	s_delay_alu instid0(VALU_DEP_1)
	v_add_nc_u64_e32 v[18:19], v[38:39], v[0:1]
	s_branch .LBB0_664
.LBB0_661:                              ;   in Loop: Header=BB0_664 Depth=3
	s_wait_xcnt 0x0
	s_or_b32 exec_lo, exec_lo, s1
	s_delay_alu instid0(VALU_DEP_1)
	v_readfirstlane_b32 s1, v1
	s_cmp_eq_u32 s1, 0
	s_cbranch_scc1 .LBB0_663
; %bb.662:                              ;   in Loop: Header=BB0_664 Depth=3
	s_sleep 1
	s_cbranch_execnz .LBB0_664
	s_branch .LBB0_666
.LBB0_663:                              ;   in Loop: Header=BB0_595 Depth=2
	s_branch .LBB0_666
.LBB0_664:                              ;   Parent Loop BB0_137 Depth=1
                                        ;     Parent Loop BB0_595 Depth=2
                                        ; =>    This Inner Loop Header: Depth=3
	v_mov_b32_e32 v1, 1
	s_and_saveexec_b32 s1, s0
	s_cbranch_execz .LBB0_661
; %bb.665:                              ;   in Loop: Header=BB0_664 Depth=3
	global_load_b32 v1, v[42:43], off offset:20 scope:SCOPE_SYS
	s_wait_loadcnt 0x0
	global_inv scope:SCOPE_SYS
	v_and_b32_e32 v1, 1, v1
	s_branch .LBB0_661
.LBB0_666:                              ;   in Loop: Header=BB0_595 Depth=2
	global_load_b64 v[18:19], v[18:19], off
	s_wait_xcnt 0x0
	s_and_saveexec_b32 s40, s0
	s_cbranch_execz .LBB0_594
; %bb.667:                              ;   in Loop: Header=BB0_595 Depth=2
	s_clause 0x2
	global_load_b64 v[20:21], v3, s[16:17] offset:40
	global_load_b64 v[28:29], v3, s[16:17] offset:24 scope:SCOPE_SYS
	global_load_b64 v[24:25], v3, s[16:17]
	s_wait_loadcnt 0x2
	v_readfirstlane_b32 s44, v20
	v_readfirstlane_b32 s45, v21
	s_add_nc_u64 s[0:1], s[44:45], 1
	s_delay_alu instid0(SALU_CYCLE_1) | instskip(NEXT) | instid1(SALU_CYCLE_1)
	s_add_nc_u64 s[38:39], s[0:1], s[38:39]
	s_cmp_eq_u64 s[38:39], 0
	s_cselect_b32 s1, s1, s39
	s_cselect_b32 s0, s0, s38
	s_delay_alu instid0(SALU_CYCLE_1) | instskip(SKIP_1) | instid1(SALU_CYCLE_1)
	v_dual_mov_b32 v27, s1 :: v_dual_mov_b32 v26, s0
	s_and_b64 s[38:39], s[0:1], s[44:45]
	s_mul_u64 s[38:39], s[38:39], 24
	s_wait_loadcnt 0x0
	v_add_nc_u64_e32 v[20:21], s[38:39], v[24:25]
	global_store_b64 v[20:21], v[28:29], off
	global_wb scope:SCOPE_SYS
	s_wait_storecnt 0x0
	s_wait_xcnt 0x0
	global_atomic_cmpswap_b64 v[26:27], v3, v[26:29], s[16:17] offset:24 th:TH_ATOMIC_RETURN scope:SCOPE_SYS
	s_wait_loadcnt 0x0
	v_cmp_ne_u64_e32 vcc_lo, v[26:27], v[28:29]
	s_and_b32 exec_lo, exec_lo, vcc_lo
	s_cbranch_execz .LBB0_594
; %bb.668:                              ;   in Loop: Header=BB0_595 Depth=2
	s_mov_b32 s38, 0
.LBB0_669:                              ;   Parent Loop BB0_137 Depth=1
                                        ;     Parent Loop BB0_595 Depth=2
                                        ; =>    This Inner Loop Header: Depth=3
	v_dual_mov_b32 v24, s0 :: v_dual_mov_b32 v25, s1
	s_sleep 1
	global_store_b64 v[20:21], v[26:27], off
	global_wb scope:SCOPE_SYS
	s_wait_storecnt 0x0
	s_wait_xcnt 0x0
	global_atomic_cmpswap_b64 v[24:25], v3, v[24:27], s[16:17] offset:24 th:TH_ATOMIC_RETURN scope:SCOPE_SYS
	s_wait_loadcnt 0x0
	v_cmp_eq_u64_e32 vcc_lo, v[24:25], v[26:27]
	v_mov_b64_e32 v[26:27], v[24:25]
	s_or_b32 s38, vcc_lo, s38
	s_delay_alu instid0(SALU_CYCLE_1)
	s_and_not1_b32 exec_lo, exec_lo, s38
	s_cbranch_execnz .LBB0_669
	s_branch .LBB0_594
.LBB0_670:                              ;   in Loop: Header=BB0_137 Depth=1
	s_branch .LBB0_699
.LBB0_671:                              ;   in Loop: Header=BB0_137 Depth=1
                                        ; implicit-def: $vgpr18_vgpr19
	s_cbranch_execz .LBB0_699
; %bb.672:                              ;   in Loop: Header=BB0_137 Depth=1
	v_readfirstlane_b32 s0, v46
	v_mov_b64_e32 v[8:9], 0
	s_delay_alu instid0(VALU_DEP_2)
	v_cmp_eq_u32_e64 s0, s0, v46
	s_and_saveexec_b32 s1, s0
	s_cbranch_execz .LBB0_678
; %bb.673:                              ;   in Loop: Header=BB0_137 Depth=1
	global_load_b64 v[20:21], v3, s[16:17] offset:24 scope:SCOPE_SYS
	s_wait_loadcnt 0x0
	global_inv scope:SCOPE_SYS
	s_clause 0x1
	global_load_b64 v[8:9], v3, s[16:17] offset:40
	global_load_b64 v[18:19], v3, s[16:17]
	s_mov_b32 s30, exec_lo
	s_wait_loadcnt 0x1
	v_and_b32_e32 v8, v8, v20
	v_and_b32_e32 v9, v9, v21
	s_delay_alu instid0(VALU_DEP_1) | instskip(SKIP_1) | instid1(VALU_DEP_1)
	v_mul_u64_e32 v[8:9], 24, v[8:9]
	s_wait_loadcnt 0x0
	v_add_nc_u64_e32 v[8:9], v[18:19], v[8:9]
	global_load_b64 v[18:19], v[8:9], off scope:SCOPE_SYS
	s_wait_xcnt 0x0
	s_wait_loadcnt 0x0
	global_atomic_cmpswap_b64 v[8:9], v3, v[18:21], s[16:17] offset:24 th:TH_ATOMIC_RETURN scope:SCOPE_SYS
	s_wait_loadcnt 0x0
	global_inv scope:SCOPE_SYS
	s_wait_xcnt 0x0
	v_cmpx_ne_u64_e64 v[8:9], v[20:21]
	s_cbranch_execz .LBB0_677
; %bb.674:                              ;   in Loop: Header=BB0_137 Depth=1
	s_mov_b32 s31, 0
.LBB0_675:                              ;   Parent Loop BB0_137 Depth=1
                                        ; =>  This Inner Loop Header: Depth=2
	s_sleep 1
	s_clause 0x1
	global_load_b64 v[18:19], v3, s[16:17] offset:40
	global_load_b64 v[24:25], v3, s[16:17]
	v_mov_b64_e32 v[20:21], v[8:9]
	s_wait_loadcnt 0x1
	s_delay_alu instid0(VALU_DEP_1) | instskip(SKIP_1) | instid1(VALU_DEP_1)
	v_and_b32_e32 v1, v18, v20
	s_wait_loadcnt 0x0
	v_mad_nc_u64_u32 v[8:9], v1, 24, v[24:25]
	s_delay_alu instid0(VALU_DEP_3) | instskip(NEXT) | instid1(VALU_DEP_1)
	v_and_b32_e32 v1, v19, v21
	v_mad_u32 v9, v1, 24, v9
	global_load_b64 v[18:19], v[8:9], off scope:SCOPE_SYS
	s_wait_xcnt 0x0
	s_wait_loadcnt 0x0
	global_atomic_cmpswap_b64 v[8:9], v3, v[18:21], s[16:17] offset:24 th:TH_ATOMIC_RETURN scope:SCOPE_SYS
	s_wait_loadcnt 0x0
	global_inv scope:SCOPE_SYS
	v_cmp_eq_u64_e32 vcc_lo, v[8:9], v[20:21]
	s_or_b32 s31, vcc_lo, s31
	s_wait_xcnt 0x0
	s_and_not1_b32 exec_lo, exec_lo, s31
	s_cbranch_execnz .LBB0_675
; %bb.676:                              ;   in Loop: Header=BB0_137 Depth=1
	s_or_b32 exec_lo, exec_lo, s31
.LBB0_677:                              ;   in Loop: Header=BB0_137 Depth=1
	s_delay_alu instid0(SALU_CYCLE_1)
	s_or_b32 exec_lo, exec_lo, s30
.LBB0_678:                              ;   in Loop: Header=BB0_137 Depth=1
	s_delay_alu instid0(SALU_CYCLE_1)
	s_or_b32 exec_lo, exec_lo, s1
	global_load_b64 v[24:25], v3, s[16:17] offset:40
	s_wait_loadcnt 0x1
	global_load_b128 v[18:21], v3, s[16:17]
	v_readfirstlane_b32 s30, v8
	v_readfirstlane_b32 s31, v9
	s_mov_b32 s1, exec_lo
	s_wait_loadcnt 0x1
	v_and_b32_e32 v24, s30, v24
	v_and_b32_e32 v25, s31, v25
	s_delay_alu instid0(VALU_DEP_1) | instskip(SKIP_1) | instid1(VALU_DEP_1)
	v_mul_u64_e32 v[8:9], 24, v[24:25]
	s_wait_loadcnt 0x0
	v_add_nc_u64_e32 v[8:9], v[18:19], v[8:9]
	s_wait_xcnt 0x0
	s_and_saveexec_b32 s34, s0
	s_cbranch_execz .LBB0_680
; %bb.679:                              ;   in Loop: Header=BB0_137 Depth=1
	v_mov_b32_e32 v2, s1
	global_store_b128 v[8:9], v[2:5], off offset:8
.LBB0_680:                              ;   in Loop: Header=BB0_137 Depth=1
	s_wait_xcnt 0x0
	s_or_b32 exec_lo, exec_lo, s34
	v_lshlrev_b64_e32 v[24:25], 12, v[24:25]
	v_mov_b64_e32 v[30:31], s[10:11]
	v_mov_b64_e32 v[28:29], s[8:9]
	v_and_or_b32 v22, 0xffffff1f, v22, 32
	s_delay_alu instid0(VALU_DEP_4) | instskip(SKIP_1) | instid1(VALU_DEP_2)
	v_add_nc_u64_e32 v[26:27], v[20:21], v[24:25]
	v_dual_mov_b32 v24, v3 :: v_dual_mov_b32 v25, v3
	v_readfirstlane_b32 s34, v26
	s_delay_alu instid0(VALU_DEP_3)
	v_readfirstlane_b32 s35, v27
	s_clause 0x3
	global_store_b128 v0, v[22:25], s[34:35]
	global_store_b128 v0, v[28:31], s[34:35] offset:16
	global_store_b128 v0, v[28:31], s[34:35] offset:32
	;; [unrolled: 1-line block ×3, first 2 shown]
	s_wait_xcnt 0x0
	s_and_saveexec_b32 s1, s0
	s_cbranch_execz .LBB0_688
; %bb.681:                              ;   in Loop: Header=BB0_137 Depth=1
	s_clause 0x1
	global_load_b64 v[30:31], v3, s[16:17] offset:32 scope:SCOPE_SYS
	global_load_b64 v[20:21], v3, s[16:17] offset:40
	s_mov_b32 s34, exec_lo
	v_dual_mov_b32 v28, s30 :: v_dual_mov_b32 v29, s31
	s_wait_loadcnt 0x0
	v_and_b32_e32 v21, s31, v21
	v_and_b32_e32 v20, s30, v20
	s_delay_alu instid0(VALU_DEP_1) | instskip(NEXT) | instid1(VALU_DEP_1)
	v_mul_u64_e32 v[20:21], 24, v[20:21]
	v_add_nc_u64_e32 v[22:23], v[18:19], v[20:21]
	global_store_b64 v[22:23], v[30:31], off
	global_wb scope:SCOPE_SYS
	s_wait_storecnt 0x0
	s_wait_xcnt 0x0
	global_atomic_cmpswap_b64 v[20:21], v3, v[28:31], s[16:17] offset:32 th:TH_ATOMIC_RETURN scope:SCOPE_SYS
	s_wait_loadcnt 0x0
	v_cmpx_ne_u64_e64 v[20:21], v[30:31]
	s_cbranch_execz .LBB0_684
; %bb.682:                              ;   in Loop: Header=BB0_137 Depth=1
	s_mov_b32 s35, 0
.LBB0_683:                              ;   Parent Loop BB0_137 Depth=1
                                        ; =>  This Inner Loop Header: Depth=2
	v_dual_mov_b32 v18, s30 :: v_dual_mov_b32 v19, s31
	s_sleep 1
	global_store_b64 v[22:23], v[20:21], off
	global_wb scope:SCOPE_SYS
	s_wait_storecnt 0x0
	s_wait_xcnt 0x0
	global_atomic_cmpswap_b64 v[18:19], v3, v[18:21], s[16:17] offset:32 th:TH_ATOMIC_RETURN scope:SCOPE_SYS
	s_wait_loadcnt 0x0
	v_cmp_eq_u64_e32 vcc_lo, v[18:19], v[20:21]
	v_mov_b64_e32 v[20:21], v[18:19]
	s_or_b32 s35, vcc_lo, s35
	s_delay_alu instid0(SALU_CYCLE_1)
	s_and_not1_b32 exec_lo, exec_lo, s35
	s_cbranch_execnz .LBB0_683
.LBB0_684:                              ;   in Loop: Header=BB0_137 Depth=1
	s_or_b32 exec_lo, exec_lo, s34
	global_load_b64 v[18:19], v3, s[16:17] offset:16
	s_mov_b32 s35, exec_lo
	s_mov_b32 s34, exec_lo
	v_mbcnt_lo_u32_b32 v1, s35, 0
	s_wait_xcnt 0x0
	s_delay_alu instid0(VALU_DEP_1)
	v_cmpx_eq_u32_e32 0, v1
	s_cbranch_execz .LBB0_686
; %bb.685:                              ;   in Loop: Header=BB0_137 Depth=1
	s_bcnt1_i32_b32 s35, s35
	s_delay_alu instid0(SALU_CYCLE_1)
	v_mov_b32_e32 v2, s35
	global_wb scope:SCOPE_SYS
	s_wait_loadcnt 0x0
	s_wait_storecnt 0x0
	global_atomic_add_u64 v[18:19], v[2:3], off offset:8 scope:SCOPE_SYS
.LBB0_686:                              ;   in Loop: Header=BB0_137 Depth=1
	s_wait_xcnt 0x0
	s_or_b32 exec_lo, exec_lo, s34
	s_wait_loadcnt 0x0
	global_load_b64 v[20:21], v[18:19], off offset:16
	s_wait_loadcnt 0x0
	v_cmp_eq_u64_e32 vcc_lo, 0, v[20:21]
	s_cbranch_vccnz .LBB0_688
; %bb.687:                              ;   in Loop: Header=BB0_137 Depth=1
	global_load_b32 v2, v[18:19], off offset:24
	s_wait_loadcnt 0x0
	v_readfirstlane_b32 s34, v2
	global_wb scope:SCOPE_SYS
	s_wait_storecnt 0x0
	s_wait_xcnt 0x0
	global_store_b64 v[20:21], v[2:3], off scope:SCOPE_SYS
	s_and_b32 m0, s34, 0xffffff
	s_sendmsg sendmsg(MSG_INTERRUPT)
.LBB0_688:                              ;   in Loop: Header=BB0_137 Depth=1
	s_wait_xcnt 0x0
	s_or_b32 exec_lo, exec_lo, s1
	v_mov_b32_e32 v1, v3
	s_delay_alu instid0(VALU_DEP_1)
	v_add_nc_u64_e32 v[18:19], v[26:27], v[0:1]
	s_branch .LBB0_692
.LBB0_689:                              ;   in Loop: Header=BB0_692 Depth=2
	s_wait_xcnt 0x0
	s_or_b32 exec_lo, exec_lo, s1
	s_delay_alu instid0(VALU_DEP_1)
	v_readfirstlane_b32 s1, v1
	s_cmp_eq_u32 s1, 0
	s_cbranch_scc1 .LBB0_691
; %bb.690:                              ;   in Loop: Header=BB0_692 Depth=2
	s_sleep 1
	s_cbranch_execnz .LBB0_692
	s_branch .LBB0_694
.LBB0_691:                              ;   in Loop: Header=BB0_137 Depth=1
	s_branch .LBB0_694
.LBB0_692:                              ;   Parent Loop BB0_137 Depth=1
                                        ; =>  This Inner Loop Header: Depth=2
	v_mov_b32_e32 v1, 1
	s_and_saveexec_b32 s1, s0
	s_cbranch_execz .LBB0_689
; %bb.693:                              ;   in Loop: Header=BB0_692 Depth=2
	global_load_b32 v1, v[8:9], off offset:20 scope:SCOPE_SYS
	s_wait_loadcnt 0x0
	global_inv scope:SCOPE_SYS
	v_and_b32_e32 v1, 1, v1
	s_branch .LBB0_689
.LBB0_694:                              ;   in Loop: Header=BB0_137 Depth=1
	global_load_b64 v[18:19], v[18:19], off
	s_wait_xcnt 0x0
	s_and_saveexec_b32 s34, s0
	s_cbranch_execz .LBB0_698
; %bb.695:                              ;   in Loop: Header=BB0_137 Depth=1
	s_clause 0x2
	global_load_b64 v[8:9], v3, s[16:17] offset:40
	global_load_b64 v[24:25], v3, s[16:17] offset:24 scope:SCOPE_SYS
	global_load_b64 v[20:21], v3, s[16:17]
	s_wait_loadcnt 0x2
	v_readfirstlane_b32 s36, v8
	v_readfirstlane_b32 s37, v9
	s_add_nc_u64 s[0:1], s[36:37], 1
	s_delay_alu instid0(SALU_CYCLE_1) | instskip(NEXT) | instid1(SALU_CYCLE_1)
	s_add_nc_u64 s[30:31], s[0:1], s[30:31]
	s_cmp_eq_u64 s[30:31], 0
	s_cselect_b32 s1, s1, s31
	s_cselect_b32 s0, s0, s30
	s_delay_alu instid0(SALU_CYCLE_1) | instskip(SKIP_1) | instid1(SALU_CYCLE_1)
	v_dual_mov_b32 v23, s1 :: v_dual_mov_b32 v22, s0
	s_and_b64 s[30:31], s[0:1], s[36:37]
	s_mul_u64 s[30:31], s[30:31], 24
	s_wait_loadcnt 0x0
	v_add_nc_u64_e32 v[8:9], s[30:31], v[20:21]
	global_store_b64 v[8:9], v[24:25], off
	global_wb scope:SCOPE_SYS
	s_wait_storecnt 0x0
	s_wait_xcnt 0x0
	global_atomic_cmpswap_b64 v[22:23], v3, v[22:25], s[16:17] offset:24 th:TH_ATOMIC_RETURN scope:SCOPE_SYS
	s_wait_loadcnt 0x0
	v_cmp_ne_u64_e32 vcc_lo, v[22:23], v[24:25]
	s_and_b32 exec_lo, exec_lo, vcc_lo
	s_cbranch_execz .LBB0_698
; %bb.696:                              ;   in Loop: Header=BB0_137 Depth=1
	s_mov_b32 s30, 0
.LBB0_697:                              ;   Parent Loop BB0_137 Depth=1
                                        ; =>  This Inner Loop Header: Depth=2
	v_dual_mov_b32 v20, s0 :: v_dual_mov_b32 v21, s1
	s_sleep 1
	global_store_b64 v[8:9], v[22:23], off
	global_wb scope:SCOPE_SYS
	s_wait_storecnt 0x0
	s_wait_xcnt 0x0
	global_atomic_cmpswap_b64 v[20:21], v3, v[20:23], s[16:17] offset:24 th:TH_ATOMIC_RETURN scope:SCOPE_SYS
	s_wait_loadcnt 0x0
	v_cmp_eq_u64_e32 vcc_lo, v[20:21], v[22:23]
	v_mov_b64_e32 v[22:23], v[20:21]
	s_or_b32 s30, vcc_lo, s30
	s_delay_alu instid0(SALU_CYCLE_1)
	s_and_not1_b32 exec_lo, exec_lo, s30
	s_cbranch_execnz .LBB0_697
.LBB0_698:                              ;   in Loop: Header=BB0_137 Depth=1
	s_or_b32 exec_lo, exec_lo, s34
.LBB0_699:                              ;   in Loop: Header=BB0_137 Depth=1
	s_bitcmp0_b32 s43, 0
	s_mov_b64 s[34:35], 0
	s_cselect_b32 s31, s23, s21
	s_cselect_b32 s30, s22, s20
	s_delay_alu instid0(SALU_CYCLE_1)
	s_cmp_lg_u64 s[30:31], 0
	s_cselect_b32 s36, -1, 0
	s_cmp_eq_u64 s[30:31], 0
	s_cbranch_scc1 .LBB0_703
; %bb.700:                              ;   in Loop: Header=BB0_137 Depth=1
	s_add_nc_u64 s[0:1], s[30:31], -1
.LBB0_701:                              ;   Parent Loop BB0_137 Depth=1
                                        ; =>  This Inner Loop Header: Depth=2
	s_load_u8 s34, s[0:1], 0x1
	s_wait_xcnt 0x0
	s_add_nc_u64 s[0:1], s[0:1], 1
	s_wait_kmcnt 0x0
	s_cmp_lg_u32 s34, 0
	s_cbranch_scc1 .LBB0_701
; %bb.702:                              ;   in Loop: Header=BB0_137 Depth=1
	s_sub_nc_u64 s[0:1], s[0:1], s[30:31]
	s_delay_alu instid0(SALU_CYCLE_1)
	s_add_nc_u64 s[34:35], s[0:1], 1
.LBB0_703:                              ;   in Loop: Header=BB0_137 Depth=1
	s_and_b32 vcc_lo, exec_lo, s36
	s_cbranch_vccz .LBB0_782
; %bb.704:                              ;   in Loop: Header=BB0_137 Depth=1
	s_wait_loadcnt 0x0
	v_dual_mov_b32 v21, v19 :: v_dual_bitop2_b32 v8, 2, v18 bitop3:0x40
	v_and_b32_e32 v20, -3, v18
	s_branch .LBB0_706
.LBB0_705:                              ;   in Loop: Header=BB0_706 Depth=2
	s_or_b32 exec_lo, exec_lo, s40
	s_sub_nc_u64 s[34:35], s[34:35], s[36:37]
	s_add_nc_u64 s[30:31], s[30:31], s[36:37]
	s_cmp_lg_u64 s[34:35], 0
	s_cbranch_scc0 .LBB0_781
.LBB0_706:                              ;   Parent Loop BB0_137 Depth=1
                                        ; =>  This Loop Header: Depth=2
                                        ;       Child Loop BB0_709 Depth 3
                                        ;       Child Loop BB0_716 Depth 3
	;; [unrolled: 1-line block ×11, first 2 shown]
	v_min_u64 v[22:23], s[34:35], 56
	v_cmp_gt_u64_e64 s0, s[34:35], 7
	s_and_b32 vcc_lo, exec_lo, s0
	v_readfirstlane_b32 s36, v22
	v_readfirstlane_b32 s37, v23
	s_cbranch_vccnz .LBB0_711
; %bb.707:                              ;   in Loop: Header=BB0_706 Depth=2
	v_mov_b64_e32 v[22:23], 0
	s_cmp_eq_u64 s[34:35], 0
	s_cbranch_scc1 .LBB0_710
; %bb.708:                              ;   in Loop: Header=BB0_706 Depth=2
	s_mov_b64 s[0:1], 0
	s_mov_b64 s[38:39], 0
.LBB0_709:                              ;   Parent Loop BB0_137 Depth=1
                                        ;     Parent Loop BB0_706 Depth=2
                                        ; =>    This Inner Loop Header: Depth=3
	s_wait_xcnt 0x0
	s_add_nc_u64 s[40:41], s[30:31], s[38:39]
	s_add_nc_u64 s[38:39], s[38:39], 1
	global_load_u8 v1, v3, s[40:41]
	s_cmp_lg_u32 s36, s38
	s_wait_loadcnt 0x0
	v_and_b32_e32 v2, 0xffff, v1
	s_delay_alu instid0(VALU_DEP_1) | instskip(SKIP_1) | instid1(VALU_DEP_1)
	v_lshlrev_b64_e32 v[24:25], s0, v[2:3]
	s_add_nc_u64 s[0:1], s[0:1], 8
	v_or_b32_e32 v22, v24, v22
	s_delay_alu instid0(VALU_DEP_2)
	v_or_b32_e32 v23, v25, v23
	s_cbranch_scc1 .LBB0_709
.LBB0_710:                              ;   in Loop: Header=BB0_706 Depth=2
	s_mov_b64 s[0:1], s[30:31]
	s_mov_b32 s44, 0
	s_cbranch_execz .LBB0_712
	s_branch .LBB0_713
.LBB0_711:                              ;   in Loop: Header=BB0_706 Depth=2
	s_add_nc_u64 s[0:1], s[30:31], 8
	s_mov_b32 s44, 0
.LBB0_712:                              ;   in Loop: Header=BB0_706 Depth=2
	global_load_b64 v[22:23], v3, s[30:31]
	s_add_co_i32 s44, s36, -8
.LBB0_713:                              ;   in Loop: Header=BB0_706 Depth=2
	s_delay_alu instid0(SALU_CYCLE_1)
	s_cmp_gt_u32 s44, 7
	s_cbranch_scc1 .LBB0_718
; %bb.714:                              ;   in Loop: Header=BB0_706 Depth=2
	v_mov_b64_e32 v[24:25], 0
	s_cmp_eq_u32 s44, 0
	s_cbranch_scc1 .LBB0_717
; %bb.715:                              ;   in Loop: Header=BB0_706 Depth=2
	s_mov_b64 s[38:39], 0
	s_wait_xcnt 0x0
	s_mov_b64 s[40:41], 0
.LBB0_716:                              ;   Parent Loop BB0_137 Depth=1
                                        ;     Parent Loop BB0_706 Depth=2
                                        ; =>    This Inner Loop Header: Depth=3
	s_wait_xcnt 0x0
	s_add_nc_u64 s[46:47], s[0:1], s[40:41]
	s_add_nc_u64 s[40:41], s[40:41], 1
	global_load_u8 v1, v3, s[46:47]
	s_cmp_lg_u32 s44, s40
	s_wait_loadcnt 0x0
	v_and_b32_e32 v2, 0xffff, v1
	s_delay_alu instid0(VALU_DEP_1) | instskip(SKIP_1) | instid1(VALU_DEP_1)
	v_lshlrev_b64_e32 v[26:27], s38, v[2:3]
	s_add_nc_u64 s[38:39], s[38:39], 8
	v_or_b32_e32 v24, v26, v24
	s_delay_alu instid0(VALU_DEP_2)
	v_or_b32_e32 v25, v27, v25
	s_cbranch_scc1 .LBB0_716
.LBB0_717:                              ;   in Loop: Header=BB0_706 Depth=2
	s_wait_xcnt 0x0
	s_mov_b64 s[38:39], s[0:1]
	s_mov_b32 s45, 0
	s_cbranch_execz .LBB0_719
	s_branch .LBB0_720
.LBB0_718:                              ;   in Loop: Header=BB0_706 Depth=2
	s_add_nc_u64 s[38:39], s[0:1], 8
	s_wait_xcnt 0x0
                                        ; implicit-def: $vgpr24_vgpr25
	s_mov_b32 s45, 0
.LBB0_719:                              ;   in Loop: Header=BB0_706 Depth=2
	global_load_b64 v[24:25], v3, s[0:1]
	s_add_co_i32 s45, s44, -8
.LBB0_720:                              ;   in Loop: Header=BB0_706 Depth=2
	s_delay_alu instid0(SALU_CYCLE_1)
	s_cmp_gt_u32 s45, 7
	s_cbranch_scc1 .LBB0_725
; %bb.721:                              ;   in Loop: Header=BB0_706 Depth=2
	v_mov_b64_e32 v[26:27], 0
	s_cmp_eq_u32 s45, 0
	s_cbranch_scc1 .LBB0_724
; %bb.722:                              ;   in Loop: Header=BB0_706 Depth=2
	s_wait_xcnt 0x0
	s_mov_b64 s[0:1], 0
	s_mov_b64 s[40:41], 0
.LBB0_723:                              ;   Parent Loop BB0_137 Depth=1
                                        ;     Parent Loop BB0_706 Depth=2
                                        ; =>    This Inner Loop Header: Depth=3
	s_wait_xcnt 0x0
	s_add_nc_u64 s[46:47], s[38:39], s[40:41]
	s_add_nc_u64 s[40:41], s[40:41], 1
	global_load_u8 v1, v3, s[46:47]
	s_cmp_lg_u32 s45, s40
	s_wait_loadcnt 0x0
	v_and_b32_e32 v2, 0xffff, v1
	s_delay_alu instid0(VALU_DEP_1) | instskip(SKIP_1) | instid1(VALU_DEP_1)
	v_lshlrev_b64_e32 v[28:29], s0, v[2:3]
	s_add_nc_u64 s[0:1], s[0:1], 8
	v_or_b32_e32 v26, v28, v26
	s_delay_alu instid0(VALU_DEP_2)
	v_or_b32_e32 v27, v29, v27
	s_cbranch_scc1 .LBB0_723
.LBB0_724:                              ;   in Loop: Header=BB0_706 Depth=2
	s_wait_xcnt 0x0
	s_mov_b64 s[0:1], s[38:39]
	s_mov_b32 s44, 0
	s_cbranch_execz .LBB0_726
	s_branch .LBB0_727
.LBB0_725:                              ;   in Loop: Header=BB0_706 Depth=2
	s_wait_xcnt 0x0
	s_add_nc_u64 s[0:1], s[38:39], 8
	s_mov_b32 s44, 0
.LBB0_726:                              ;   in Loop: Header=BB0_706 Depth=2
	global_load_b64 v[26:27], v3, s[38:39]
	s_add_co_i32 s44, s45, -8
.LBB0_727:                              ;   in Loop: Header=BB0_706 Depth=2
	s_delay_alu instid0(SALU_CYCLE_1)
	s_cmp_gt_u32 s44, 7
	s_cbranch_scc1 .LBB0_732
; %bb.728:                              ;   in Loop: Header=BB0_706 Depth=2
	v_mov_b64_e32 v[28:29], 0
	s_cmp_eq_u32 s44, 0
	s_cbranch_scc1 .LBB0_731
; %bb.729:                              ;   in Loop: Header=BB0_706 Depth=2
	s_wait_xcnt 0x0
	s_mov_b64 s[38:39], 0
	s_mov_b64 s[40:41], 0
.LBB0_730:                              ;   Parent Loop BB0_137 Depth=1
                                        ;     Parent Loop BB0_706 Depth=2
                                        ; =>    This Inner Loop Header: Depth=3
	s_wait_xcnt 0x0
	s_add_nc_u64 s[46:47], s[0:1], s[40:41]
	s_add_nc_u64 s[40:41], s[40:41], 1
	global_load_u8 v1, v3, s[46:47]
	s_cmp_lg_u32 s44, s40
	s_wait_loadcnt 0x0
	v_and_b32_e32 v2, 0xffff, v1
	s_delay_alu instid0(VALU_DEP_1) | instskip(SKIP_1) | instid1(VALU_DEP_1)
	v_lshlrev_b64_e32 v[30:31], s38, v[2:3]
	s_add_nc_u64 s[38:39], s[38:39], 8
	v_or_b32_e32 v28, v30, v28
	s_delay_alu instid0(VALU_DEP_2)
	v_or_b32_e32 v29, v31, v29
	s_cbranch_scc1 .LBB0_730
.LBB0_731:                              ;   in Loop: Header=BB0_706 Depth=2
	s_wait_xcnt 0x0
	s_mov_b64 s[38:39], s[0:1]
	s_mov_b32 s45, 0
	s_cbranch_execz .LBB0_733
	s_branch .LBB0_734
.LBB0_732:                              ;   in Loop: Header=BB0_706 Depth=2
	s_wait_xcnt 0x0
	s_add_nc_u64 s[38:39], s[0:1], 8
                                        ; implicit-def: $vgpr28_vgpr29
	s_mov_b32 s45, 0
.LBB0_733:                              ;   in Loop: Header=BB0_706 Depth=2
	global_load_b64 v[28:29], v3, s[0:1]
	s_add_co_i32 s45, s44, -8
.LBB0_734:                              ;   in Loop: Header=BB0_706 Depth=2
	s_delay_alu instid0(SALU_CYCLE_1)
	s_cmp_gt_u32 s45, 7
	s_cbranch_scc1 .LBB0_739
; %bb.735:                              ;   in Loop: Header=BB0_706 Depth=2
	v_mov_b64_e32 v[30:31], 0
	s_cmp_eq_u32 s45, 0
	s_cbranch_scc1 .LBB0_738
; %bb.736:                              ;   in Loop: Header=BB0_706 Depth=2
	s_wait_xcnt 0x0
	s_mov_b64 s[0:1], 0
	s_mov_b64 s[40:41], 0
.LBB0_737:                              ;   Parent Loop BB0_137 Depth=1
                                        ;     Parent Loop BB0_706 Depth=2
                                        ; =>    This Inner Loop Header: Depth=3
	s_wait_xcnt 0x0
	s_add_nc_u64 s[46:47], s[38:39], s[40:41]
	s_add_nc_u64 s[40:41], s[40:41], 1
	global_load_u8 v1, v3, s[46:47]
	s_cmp_lg_u32 s45, s40
	s_wait_loadcnt 0x0
	v_and_b32_e32 v2, 0xffff, v1
	s_delay_alu instid0(VALU_DEP_1) | instskip(SKIP_1) | instid1(VALU_DEP_1)
	v_lshlrev_b64_e32 v[32:33], s0, v[2:3]
	s_add_nc_u64 s[0:1], s[0:1], 8
	v_or_b32_e32 v30, v32, v30
	s_delay_alu instid0(VALU_DEP_2)
	v_or_b32_e32 v31, v33, v31
	s_cbranch_scc1 .LBB0_737
.LBB0_738:                              ;   in Loop: Header=BB0_706 Depth=2
	s_wait_xcnt 0x0
	s_mov_b64 s[0:1], s[38:39]
	s_mov_b32 s44, 0
	s_cbranch_execz .LBB0_740
	s_branch .LBB0_741
.LBB0_739:                              ;   in Loop: Header=BB0_706 Depth=2
	s_wait_xcnt 0x0
	s_add_nc_u64 s[0:1], s[38:39], 8
	s_mov_b32 s44, 0
.LBB0_740:                              ;   in Loop: Header=BB0_706 Depth=2
	global_load_b64 v[30:31], v3, s[38:39]
	s_add_co_i32 s44, s45, -8
.LBB0_741:                              ;   in Loop: Header=BB0_706 Depth=2
	s_delay_alu instid0(SALU_CYCLE_1)
	s_cmp_gt_u32 s44, 7
	s_cbranch_scc1 .LBB0_746
; %bb.742:                              ;   in Loop: Header=BB0_706 Depth=2
	v_mov_b64_e32 v[32:33], 0
	s_cmp_eq_u32 s44, 0
	s_cbranch_scc1 .LBB0_745
; %bb.743:                              ;   in Loop: Header=BB0_706 Depth=2
	s_wait_xcnt 0x0
	s_mov_b64 s[38:39], 0
	s_mov_b64 s[40:41], 0
.LBB0_744:                              ;   Parent Loop BB0_137 Depth=1
                                        ;     Parent Loop BB0_706 Depth=2
                                        ; =>    This Inner Loop Header: Depth=3
	s_wait_xcnt 0x0
	s_add_nc_u64 s[46:47], s[0:1], s[40:41]
	s_add_nc_u64 s[40:41], s[40:41], 1
	global_load_u8 v1, v3, s[46:47]
	s_cmp_lg_u32 s44, s40
	s_wait_loadcnt 0x0
	v_and_b32_e32 v2, 0xffff, v1
	s_delay_alu instid0(VALU_DEP_1) | instskip(SKIP_1) | instid1(VALU_DEP_1)
	v_lshlrev_b64_e32 v[34:35], s38, v[2:3]
	s_add_nc_u64 s[38:39], s[38:39], 8
	v_or_b32_e32 v32, v34, v32
	s_delay_alu instid0(VALU_DEP_2)
	v_or_b32_e32 v33, v35, v33
	s_cbranch_scc1 .LBB0_744
.LBB0_745:                              ;   in Loop: Header=BB0_706 Depth=2
	s_wait_xcnt 0x0
	s_mov_b64 s[38:39], s[0:1]
	s_mov_b32 s45, 0
	s_cbranch_execz .LBB0_747
	s_branch .LBB0_748
.LBB0_746:                              ;   in Loop: Header=BB0_706 Depth=2
	s_wait_xcnt 0x0
	s_add_nc_u64 s[38:39], s[0:1], 8
                                        ; implicit-def: $vgpr32_vgpr33
	s_mov_b32 s45, 0
.LBB0_747:                              ;   in Loop: Header=BB0_706 Depth=2
	global_load_b64 v[32:33], v3, s[0:1]
	s_add_co_i32 s45, s44, -8
.LBB0_748:                              ;   in Loop: Header=BB0_706 Depth=2
	s_delay_alu instid0(SALU_CYCLE_1)
	s_cmp_gt_u32 s45, 7
	s_cbranch_scc1 .LBB0_753
; %bb.749:                              ;   in Loop: Header=BB0_706 Depth=2
	v_mov_b64_e32 v[34:35], 0
	s_cmp_eq_u32 s45, 0
	s_cbranch_scc1 .LBB0_752
; %bb.750:                              ;   in Loop: Header=BB0_706 Depth=2
	s_wait_xcnt 0x0
	s_mov_b64 s[0:1], 0
	s_mov_b64 s[40:41], s[38:39]
.LBB0_751:                              ;   Parent Loop BB0_137 Depth=1
                                        ;     Parent Loop BB0_706 Depth=2
                                        ; =>    This Inner Loop Header: Depth=3
	global_load_u8 v1, v3, s[40:41]
	s_add_co_i32 s45, s45, -1
	s_wait_xcnt 0x0
	s_add_nc_u64 s[40:41], s[40:41], 1
	s_cmp_lg_u32 s45, 0
	s_wait_loadcnt 0x0
	v_and_b32_e32 v2, 0xffff, v1
	s_delay_alu instid0(VALU_DEP_1) | instskip(SKIP_1) | instid1(VALU_DEP_1)
	v_lshlrev_b64_e32 v[36:37], s0, v[2:3]
	s_add_nc_u64 s[0:1], s[0:1], 8
	v_or_b32_e32 v34, v36, v34
	s_delay_alu instid0(VALU_DEP_2)
	v_or_b32_e32 v35, v37, v35
	s_cbranch_scc1 .LBB0_751
.LBB0_752:                              ;   in Loop: Header=BB0_706 Depth=2
	s_wait_xcnt 0x0
	s_cbranch_execz .LBB0_754
	s_branch .LBB0_755
.LBB0_753:                              ;   in Loop: Header=BB0_706 Depth=2
	s_wait_xcnt 0x0
.LBB0_754:                              ;   in Loop: Header=BB0_706 Depth=2
	global_load_b64 v[34:35], v3, s[38:39]
.LBB0_755:                              ;   in Loop: Header=BB0_706 Depth=2
	v_readfirstlane_b32 s0, v46
	v_mov_b64_e32 v[42:43], 0
	s_delay_alu instid0(VALU_DEP_2)
	v_cmp_eq_u32_e64 s0, s0, v46
	s_wait_xcnt 0x0
	s_and_saveexec_b32 s1, s0
	s_cbranch_execz .LBB0_761
; %bb.756:                              ;   in Loop: Header=BB0_706 Depth=2
	global_load_b64 v[38:39], v3, s[16:17] offset:24 scope:SCOPE_SYS
	s_wait_loadcnt 0x0
	global_inv scope:SCOPE_SYS
	s_clause 0x1
	global_load_b64 v[36:37], v3, s[16:17] offset:40
	global_load_b64 v[42:43], v3, s[16:17]
	s_mov_b32 s38, exec_lo
	s_wait_loadcnt 0x1
	v_and_b32_e32 v36, v36, v38
	v_and_b32_e32 v37, v37, v39
	s_delay_alu instid0(VALU_DEP_1) | instskip(SKIP_1) | instid1(VALU_DEP_1)
	v_mul_u64_e32 v[36:37], 24, v[36:37]
	s_wait_loadcnt 0x0
	v_add_nc_u64_e32 v[36:37], v[42:43], v[36:37]
	global_load_b64 v[36:37], v[36:37], off scope:SCOPE_SYS
	s_wait_xcnt 0x0
	s_wait_loadcnt 0x0
	global_atomic_cmpswap_b64 v[42:43], v3, v[36:39], s[16:17] offset:24 th:TH_ATOMIC_RETURN scope:SCOPE_SYS
	s_wait_loadcnt 0x0
	global_inv scope:SCOPE_SYS
	s_wait_xcnt 0x0
	v_cmpx_ne_u64_e64 v[42:43], v[38:39]
	s_cbranch_execz .LBB0_760
; %bb.757:                              ;   in Loop: Header=BB0_706 Depth=2
	s_mov_b32 s39, 0
.LBB0_758:                              ;   Parent Loop BB0_137 Depth=1
                                        ;     Parent Loop BB0_706 Depth=2
                                        ; =>    This Inner Loop Header: Depth=3
	s_sleep 1
	s_clause 0x1
	global_load_b64 v[36:37], v3, s[16:17] offset:40
	global_load_b64 v[44:45], v3, s[16:17]
	v_mov_b64_e32 v[38:39], v[42:43]
	s_wait_loadcnt 0x1
	s_delay_alu instid0(VALU_DEP_1) | instskip(SKIP_1) | instid1(VALU_DEP_1)
	v_and_b32_e32 v1, v36, v38
	s_wait_loadcnt 0x0
	v_mad_nc_u64_u32 v[42:43], v1, 24, v[44:45]
	s_delay_alu instid0(VALU_DEP_3) | instskip(NEXT) | instid1(VALU_DEP_1)
	v_and_b32_e32 v1, v37, v39
	v_mad_u32 v43, v1, 24, v43
	global_load_b64 v[36:37], v[42:43], off scope:SCOPE_SYS
	s_wait_xcnt 0x0
	s_wait_loadcnt 0x0
	global_atomic_cmpswap_b64 v[42:43], v3, v[36:39], s[16:17] offset:24 th:TH_ATOMIC_RETURN scope:SCOPE_SYS
	s_wait_loadcnt 0x0
	global_inv scope:SCOPE_SYS
	v_cmp_eq_u64_e32 vcc_lo, v[42:43], v[38:39]
	s_or_b32 s39, vcc_lo, s39
	s_wait_xcnt 0x0
	s_and_not1_b32 exec_lo, exec_lo, s39
	s_cbranch_execnz .LBB0_758
; %bb.759:                              ;   in Loop: Header=BB0_706 Depth=2
	s_or_b32 exec_lo, exec_lo, s39
.LBB0_760:                              ;   in Loop: Header=BB0_706 Depth=2
	s_delay_alu instid0(SALU_CYCLE_1)
	s_or_b32 exec_lo, exec_lo, s38
.LBB0_761:                              ;   in Loop: Header=BB0_706 Depth=2
	s_delay_alu instid0(SALU_CYCLE_1)
	s_or_b32 exec_lo, exec_lo, s1
	s_clause 0x1
	global_load_b64 v[44:45], v3, s[16:17] offset:40
	global_load_b128 v[36:39], v3, s[16:17]
	v_readfirstlane_b32 s38, v42
	v_readfirstlane_b32 s39, v43
	s_mov_b32 s1, exec_lo
	s_wait_loadcnt 0x1
	v_and_b32_e32 v44, s38, v44
	v_and_b32_e32 v45, s39, v45
	s_delay_alu instid0(VALU_DEP_1) | instskip(SKIP_1) | instid1(VALU_DEP_1)
	v_mul_u64_e32 v[42:43], 24, v[44:45]
	s_wait_loadcnt 0x0
	v_add_nc_u64_e32 v[42:43], v[36:37], v[42:43]
	s_wait_xcnt 0x0
	s_and_saveexec_b32 s40, s0
	s_cbranch_execz .LBB0_763
; %bb.762:                              ;   in Loop: Header=BB0_706 Depth=2
	v_mov_b32_e32 v2, s1
	global_store_b128 v[42:43], v[2:5], off offset:8
.LBB0_763:                              ;   in Loop: Header=BB0_706 Depth=2
	s_wait_xcnt 0x0
	s_or_b32 exec_lo, exec_lo, s40
	v_cmp_lt_u64_e64 vcc_lo, s[34:35], 57
	v_lshlrev_b64_e32 v[44:45], 12, v[44:45]
	v_and_b32_e32 v2, 0xffffff1f, v20
	s_lshl_b32 s1, s36, 2
	s_delay_alu instid0(SALU_CYCLE_1) | instskip(SKIP_1) | instid1(VALU_DEP_3)
	s_add_co_i32 s1, s1, 28
	v_cndmask_b32_e32 v1, 0, v8, vcc_lo
	v_add_nc_u64_e32 v[38:39], v[38:39], v[44:45]
	s_delay_alu instid0(VALU_DEP_2) | instskip(NEXT) | instid1(VALU_DEP_2)
	v_or_b32_e32 v1, v2, v1
	v_readfirstlane_b32 s40, v38
	s_delay_alu instid0(VALU_DEP_3) | instskip(NEXT) | instid1(VALU_DEP_3)
	v_readfirstlane_b32 s41, v39
	v_and_or_b32 v20, 0x1e0, s1, v1
	s_clause 0x3
	global_store_b128 v0, v[20:23], s[40:41]
	global_store_b128 v0, v[24:27], s[40:41] offset:16
	global_store_b128 v0, v[28:31], s[40:41] offset:32
	;; [unrolled: 1-line block ×3, first 2 shown]
	s_wait_xcnt 0x0
	s_and_saveexec_b32 s1, s0
	s_cbranch_execz .LBB0_771
; %bb.764:                              ;   in Loop: Header=BB0_706 Depth=2
	s_clause 0x1
	global_load_b64 v[28:29], v3, s[16:17] offset:32 scope:SCOPE_SYS
	global_load_b64 v[20:21], v3, s[16:17] offset:40
	s_mov_b32 s40, exec_lo
	v_dual_mov_b32 v26, s38 :: v_dual_mov_b32 v27, s39
	s_wait_loadcnt 0x0
	v_and_b32_e32 v21, s39, v21
	v_and_b32_e32 v20, s38, v20
	s_delay_alu instid0(VALU_DEP_1) | instskip(NEXT) | instid1(VALU_DEP_1)
	v_mul_u64_e32 v[20:21], 24, v[20:21]
	v_add_nc_u64_e32 v[24:25], v[36:37], v[20:21]
	global_store_b64 v[24:25], v[28:29], off
	global_wb scope:SCOPE_SYS
	s_wait_storecnt 0x0
	s_wait_xcnt 0x0
	global_atomic_cmpswap_b64 v[22:23], v3, v[26:29], s[16:17] offset:32 th:TH_ATOMIC_RETURN scope:SCOPE_SYS
	s_wait_loadcnt 0x0
	v_cmpx_ne_u64_e64 v[22:23], v[28:29]
	s_cbranch_execz .LBB0_767
; %bb.765:                              ;   in Loop: Header=BB0_706 Depth=2
	s_mov_b32 s41, 0
.LBB0_766:                              ;   Parent Loop BB0_137 Depth=1
                                        ;     Parent Loop BB0_706 Depth=2
                                        ; =>    This Inner Loop Header: Depth=3
	v_dual_mov_b32 v20, s38 :: v_dual_mov_b32 v21, s39
	s_sleep 1
	global_store_b64 v[24:25], v[22:23], off
	global_wb scope:SCOPE_SYS
	s_wait_storecnt 0x0
	s_wait_xcnt 0x0
	global_atomic_cmpswap_b64 v[20:21], v3, v[20:23], s[16:17] offset:32 th:TH_ATOMIC_RETURN scope:SCOPE_SYS
	s_wait_loadcnt 0x0
	v_cmp_eq_u64_e32 vcc_lo, v[20:21], v[22:23]
	v_mov_b64_e32 v[22:23], v[20:21]
	s_or_b32 s41, vcc_lo, s41
	s_delay_alu instid0(SALU_CYCLE_1)
	s_and_not1_b32 exec_lo, exec_lo, s41
	s_cbranch_execnz .LBB0_766
.LBB0_767:                              ;   in Loop: Header=BB0_706 Depth=2
	s_or_b32 exec_lo, exec_lo, s40
	global_load_b64 v[20:21], v3, s[16:17] offset:16
	s_mov_b32 s41, exec_lo
	s_mov_b32 s40, exec_lo
	v_mbcnt_lo_u32_b32 v1, s41, 0
	s_wait_xcnt 0x0
	s_delay_alu instid0(VALU_DEP_1)
	v_cmpx_eq_u32_e32 0, v1
	s_cbranch_execz .LBB0_769
; %bb.768:                              ;   in Loop: Header=BB0_706 Depth=2
	s_bcnt1_i32_b32 s41, s41
	s_delay_alu instid0(SALU_CYCLE_1)
	v_mov_b32_e32 v2, s41
	global_wb scope:SCOPE_SYS
	s_wait_loadcnt 0x0
	s_wait_storecnt 0x0
	global_atomic_add_u64 v[20:21], v[2:3], off offset:8 scope:SCOPE_SYS
.LBB0_769:                              ;   in Loop: Header=BB0_706 Depth=2
	s_wait_xcnt 0x0
	s_or_b32 exec_lo, exec_lo, s40
	s_wait_loadcnt 0x0
	global_load_b64 v[22:23], v[20:21], off offset:16
	s_wait_loadcnt 0x0
	v_cmp_eq_u64_e32 vcc_lo, 0, v[22:23]
	s_cbranch_vccnz .LBB0_771
; %bb.770:                              ;   in Loop: Header=BB0_706 Depth=2
	global_load_b32 v2, v[20:21], off offset:24
	s_wait_loadcnt 0x0
	v_readfirstlane_b32 s40, v2
	global_wb scope:SCOPE_SYS
	s_wait_storecnt 0x0
	s_wait_xcnt 0x0
	global_store_b64 v[22:23], v[2:3], off scope:SCOPE_SYS
	s_and_b32 m0, s40, 0xffffff
	s_sendmsg sendmsg(MSG_INTERRUPT)
.LBB0_771:                              ;   in Loop: Header=BB0_706 Depth=2
	s_wait_xcnt 0x0
	s_or_b32 exec_lo, exec_lo, s1
	v_mov_b32_e32 v1, v3
	s_delay_alu instid0(VALU_DEP_1)
	v_add_nc_u64_e32 v[20:21], v[38:39], v[0:1]
	s_branch .LBB0_775
.LBB0_772:                              ;   in Loop: Header=BB0_775 Depth=3
	s_wait_xcnt 0x0
	s_or_b32 exec_lo, exec_lo, s1
	s_delay_alu instid0(VALU_DEP_1)
	v_readfirstlane_b32 s1, v1
	s_cmp_eq_u32 s1, 0
	s_cbranch_scc1 .LBB0_774
; %bb.773:                              ;   in Loop: Header=BB0_775 Depth=3
	s_sleep 1
	s_cbranch_execnz .LBB0_775
	s_branch .LBB0_777
.LBB0_774:                              ;   in Loop: Header=BB0_706 Depth=2
	s_branch .LBB0_777
.LBB0_775:                              ;   Parent Loop BB0_137 Depth=1
                                        ;     Parent Loop BB0_706 Depth=2
                                        ; =>    This Inner Loop Header: Depth=3
	v_mov_b32_e32 v1, 1
	s_and_saveexec_b32 s1, s0
	s_cbranch_execz .LBB0_772
; %bb.776:                              ;   in Loop: Header=BB0_775 Depth=3
	global_load_b32 v1, v[42:43], off offset:20 scope:SCOPE_SYS
	s_wait_loadcnt 0x0
	global_inv scope:SCOPE_SYS
	v_and_b32_e32 v1, 1, v1
	s_branch .LBB0_772
.LBB0_777:                              ;   in Loop: Header=BB0_706 Depth=2
	global_load_b64 v[20:21], v[20:21], off
	s_wait_xcnt 0x0
	s_and_saveexec_b32 s40, s0
	s_cbranch_execz .LBB0_705
; %bb.778:                              ;   in Loop: Header=BB0_706 Depth=2
	s_clause 0x2
	global_load_b64 v[22:23], v3, s[16:17] offset:40
	global_load_b64 v[30:31], v3, s[16:17] offset:24 scope:SCOPE_SYS
	global_load_b64 v[24:25], v3, s[16:17]
	s_wait_loadcnt 0x2
	v_readfirstlane_b32 s44, v22
	v_readfirstlane_b32 s45, v23
	s_add_nc_u64 s[0:1], s[44:45], 1
	s_delay_alu instid0(SALU_CYCLE_1) | instskip(NEXT) | instid1(SALU_CYCLE_1)
	s_add_nc_u64 s[38:39], s[0:1], s[38:39]
	s_cmp_eq_u64 s[38:39], 0
	s_cselect_b32 s1, s1, s39
	s_cselect_b32 s0, s0, s38
	s_delay_alu instid0(SALU_CYCLE_1) | instskip(SKIP_1) | instid1(SALU_CYCLE_1)
	v_dual_mov_b32 v29, s1 :: v_dual_mov_b32 v28, s0
	s_and_b64 s[38:39], s[0:1], s[44:45]
	s_mul_u64 s[38:39], s[38:39], 24
	s_wait_loadcnt 0x0
	v_add_nc_u64_e32 v[26:27], s[38:39], v[24:25]
	global_store_b64 v[26:27], v[30:31], off
	global_wb scope:SCOPE_SYS
	s_wait_storecnt 0x0
	s_wait_xcnt 0x0
	global_atomic_cmpswap_b64 v[24:25], v3, v[28:31], s[16:17] offset:24 th:TH_ATOMIC_RETURN scope:SCOPE_SYS
	s_wait_loadcnt 0x0
	v_cmp_ne_u64_e32 vcc_lo, v[24:25], v[30:31]
	s_and_b32 exec_lo, exec_lo, vcc_lo
	s_cbranch_execz .LBB0_705
; %bb.779:                              ;   in Loop: Header=BB0_706 Depth=2
	s_mov_b32 s38, 0
.LBB0_780:                              ;   Parent Loop BB0_137 Depth=1
                                        ;     Parent Loop BB0_706 Depth=2
                                        ; =>    This Inner Loop Header: Depth=3
	v_dual_mov_b32 v22, s0 :: v_dual_mov_b32 v23, s1
	s_sleep 1
	global_store_b64 v[26:27], v[24:25], off
	global_wb scope:SCOPE_SYS
	s_wait_storecnt 0x0
	s_wait_xcnt 0x0
	global_atomic_cmpswap_b64 v[22:23], v3, v[22:25], s[16:17] offset:24 th:TH_ATOMIC_RETURN scope:SCOPE_SYS
	s_wait_loadcnt 0x0
	v_cmp_eq_u64_e32 vcc_lo, v[22:23], v[24:25]
	v_mov_b64_e32 v[24:25], v[22:23]
	s_or_b32 s38, vcc_lo, s38
	s_delay_alu instid0(SALU_CYCLE_1)
	s_and_not1_b32 exec_lo, exec_lo, s38
	s_cbranch_execnz .LBB0_780
	s_branch .LBB0_705
.LBB0_781:                              ;   in Loop: Header=BB0_137 Depth=1
	s_branch .LBB0_810
.LBB0_782:                              ;   in Loop: Header=BB0_137 Depth=1
                                        ; implicit-def: $vgpr20_vgpr21
	s_cbranch_execz .LBB0_810
; %bb.783:                              ;   in Loop: Header=BB0_137 Depth=1
	v_readfirstlane_b32 s0, v46
	v_mov_b64_e32 v[8:9], 0
	s_delay_alu instid0(VALU_DEP_2)
	v_cmp_eq_u32_e64 s0, s0, v46
	s_and_saveexec_b32 s1, s0
	s_cbranch_execz .LBB0_789
; %bb.784:                              ;   in Loop: Header=BB0_137 Depth=1
	s_wait_loadcnt 0x0
	global_load_b64 v[22:23], v3, s[16:17] offset:24 scope:SCOPE_SYS
	s_wait_loadcnt 0x0
	global_inv scope:SCOPE_SYS
	s_clause 0x1
	global_load_b64 v[8:9], v3, s[16:17] offset:40
	global_load_b64 v[20:21], v3, s[16:17]
	s_mov_b32 s30, exec_lo
	s_wait_loadcnt 0x1
	v_and_b32_e32 v8, v8, v22
	v_and_b32_e32 v9, v9, v23
	s_delay_alu instid0(VALU_DEP_1) | instskip(SKIP_1) | instid1(VALU_DEP_1)
	v_mul_u64_e32 v[8:9], 24, v[8:9]
	s_wait_loadcnt 0x0
	v_add_nc_u64_e32 v[8:9], v[20:21], v[8:9]
	global_load_b64 v[20:21], v[8:9], off scope:SCOPE_SYS
	s_wait_xcnt 0x0
	s_wait_loadcnt 0x0
	global_atomic_cmpswap_b64 v[8:9], v3, v[20:23], s[16:17] offset:24 th:TH_ATOMIC_RETURN scope:SCOPE_SYS
	s_wait_loadcnt 0x0
	global_inv scope:SCOPE_SYS
	s_wait_xcnt 0x0
	v_cmpx_ne_u64_e64 v[8:9], v[22:23]
	s_cbranch_execz .LBB0_788
; %bb.785:                              ;   in Loop: Header=BB0_137 Depth=1
	s_mov_b32 s31, 0
.LBB0_786:                              ;   Parent Loop BB0_137 Depth=1
                                        ; =>  This Inner Loop Header: Depth=2
	s_sleep 1
	s_clause 0x1
	global_load_b64 v[20:21], v3, s[16:17] offset:40
	global_load_b64 v[24:25], v3, s[16:17]
	v_mov_b64_e32 v[22:23], v[8:9]
	s_wait_loadcnt 0x1
	s_delay_alu instid0(VALU_DEP_1) | instskip(SKIP_1) | instid1(VALU_DEP_1)
	v_and_b32_e32 v1, v20, v22
	s_wait_loadcnt 0x0
	v_mad_nc_u64_u32 v[8:9], v1, 24, v[24:25]
	s_delay_alu instid0(VALU_DEP_3) | instskip(NEXT) | instid1(VALU_DEP_1)
	v_and_b32_e32 v1, v21, v23
	v_mad_u32 v9, v1, 24, v9
	global_load_b64 v[20:21], v[8:9], off scope:SCOPE_SYS
	s_wait_xcnt 0x0
	s_wait_loadcnt 0x0
	global_atomic_cmpswap_b64 v[8:9], v3, v[20:23], s[16:17] offset:24 th:TH_ATOMIC_RETURN scope:SCOPE_SYS
	s_wait_loadcnt 0x0
	global_inv scope:SCOPE_SYS
	v_cmp_eq_u64_e32 vcc_lo, v[8:9], v[22:23]
	s_or_b32 s31, vcc_lo, s31
	s_wait_xcnt 0x0
	s_and_not1_b32 exec_lo, exec_lo, s31
	s_cbranch_execnz .LBB0_786
; %bb.787:                              ;   in Loop: Header=BB0_137 Depth=1
	s_or_b32 exec_lo, exec_lo, s31
.LBB0_788:                              ;   in Loop: Header=BB0_137 Depth=1
	s_delay_alu instid0(SALU_CYCLE_1)
	s_or_b32 exec_lo, exec_lo, s30
.LBB0_789:                              ;   in Loop: Header=BB0_137 Depth=1
	s_delay_alu instid0(SALU_CYCLE_1)
	s_or_b32 exec_lo, exec_lo, s1
	s_wait_loadcnt 0x0
	s_clause 0x1
	global_load_b64 v[20:21], v3, s[16:17] offset:40
	global_load_b128 v[22:25], v3, s[16:17]
	v_readfirstlane_b32 s30, v8
	v_readfirstlane_b32 s31, v9
	s_mov_b32 s1, exec_lo
	s_wait_loadcnt 0x1
	v_and_b32_e32 v20, s30, v20
	v_and_b32_e32 v21, s31, v21
	s_delay_alu instid0(VALU_DEP_1) | instskip(SKIP_1) | instid1(VALU_DEP_1)
	v_mul_u64_e32 v[8:9], 24, v[20:21]
	s_wait_loadcnt 0x0
	v_add_nc_u64_e32 v[8:9], v[22:23], v[8:9]
	s_wait_xcnt 0x0
	s_and_saveexec_b32 s34, s0
	s_cbranch_execz .LBB0_791
; %bb.790:                              ;   in Loop: Header=BB0_137 Depth=1
	v_mov_b32_e32 v2, s1
	global_store_b128 v[8:9], v[2:5], off offset:8
.LBB0_791:                              ;   in Loop: Header=BB0_137 Depth=1
	s_wait_xcnt 0x0
	s_or_b32 exec_lo, exec_lo, s34
	v_lshlrev_b64_e32 v[20:21], 12, v[20:21]
	v_mov_b64_e32 v[28:29], s[10:11]
	v_mov_b64_e32 v[26:27], s[8:9]
	v_and_or_b32 v18, 0xffffff1f, v18, 32
	s_delay_alu instid0(VALU_DEP_4) | instskip(SKIP_1) | instid1(VALU_DEP_2)
	v_add_nc_u64_e32 v[24:25], v[24:25], v[20:21]
	v_dual_mov_b32 v20, v3 :: v_dual_mov_b32 v21, v3
	v_readfirstlane_b32 s34, v24
	s_delay_alu instid0(VALU_DEP_3)
	v_readfirstlane_b32 s35, v25
	s_clause 0x3
	global_store_b128 v0, v[18:21], s[34:35]
	global_store_b128 v0, v[26:29], s[34:35] offset:16
	global_store_b128 v0, v[26:29], s[34:35] offset:32
	;; [unrolled: 1-line block ×3, first 2 shown]
	s_wait_xcnt 0x0
	s_and_saveexec_b32 s1, s0
	s_cbranch_execz .LBB0_799
; %bb.792:                              ;   in Loop: Header=BB0_137 Depth=1
	s_clause 0x1
	global_load_b64 v[28:29], v3, s[16:17] offset:32 scope:SCOPE_SYS
	global_load_b64 v[18:19], v3, s[16:17] offset:40
	s_mov_b32 s34, exec_lo
	v_dual_mov_b32 v26, s30 :: v_dual_mov_b32 v27, s31
	s_wait_loadcnt 0x0
	v_and_b32_e32 v19, s31, v19
	v_and_b32_e32 v18, s30, v18
	s_delay_alu instid0(VALU_DEP_1) | instskip(NEXT) | instid1(VALU_DEP_1)
	v_mul_u64_e32 v[18:19], 24, v[18:19]
	v_add_nc_u64_e32 v[22:23], v[22:23], v[18:19]
	global_store_b64 v[22:23], v[28:29], off
	global_wb scope:SCOPE_SYS
	s_wait_storecnt 0x0
	s_wait_xcnt 0x0
	global_atomic_cmpswap_b64 v[20:21], v3, v[26:29], s[16:17] offset:32 th:TH_ATOMIC_RETURN scope:SCOPE_SYS
	s_wait_loadcnt 0x0
	v_cmpx_ne_u64_e64 v[20:21], v[28:29]
	s_cbranch_execz .LBB0_795
; %bb.793:                              ;   in Loop: Header=BB0_137 Depth=1
	s_mov_b32 s35, 0
.LBB0_794:                              ;   Parent Loop BB0_137 Depth=1
                                        ; =>  This Inner Loop Header: Depth=2
	v_dual_mov_b32 v18, s30 :: v_dual_mov_b32 v19, s31
	s_sleep 1
	global_store_b64 v[22:23], v[20:21], off
	global_wb scope:SCOPE_SYS
	s_wait_storecnt 0x0
	s_wait_xcnt 0x0
	global_atomic_cmpswap_b64 v[18:19], v3, v[18:21], s[16:17] offset:32 th:TH_ATOMIC_RETURN scope:SCOPE_SYS
	s_wait_loadcnt 0x0
	v_cmp_eq_u64_e32 vcc_lo, v[18:19], v[20:21]
	v_mov_b64_e32 v[20:21], v[18:19]
	s_or_b32 s35, vcc_lo, s35
	s_delay_alu instid0(SALU_CYCLE_1)
	s_and_not1_b32 exec_lo, exec_lo, s35
	s_cbranch_execnz .LBB0_794
.LBB0_795:                              ;   in Loop: Header=BB0_137 Depth=1
	s_or_b32 exec_lo, exec_lo, s34
	global_load_b64 v[18:19], v3, s[16:17] offset:16
	s_mov_b32 s35, exec_lo
	s_mov_b32 s34, exec_lo
	v_mbcnt_lo_u32_b32 v1, s35, 0
	s_wait_xcnt 0x0
	s_delay_alu instid0(VALU_DEP_1)
	v_cmpx_eq_u32_e32 0, v1
	s_cbranch_execz .LBB0_797
; %bb.796:                              ;   in Loop: Header=BB0_137 Depth=1
	s_bcnt1_i32_b32 s35, s35
	s_delay_alu instid0(SALU_CYCLE_1)
	v_mov_b32_e32 v2, s35
	global_wb scope:SCOPE_SYS
	s_wait_loadcnt 0x0
	s_wait_storecnt 0x0
	global_atomic_add_u64 v[18:19], v[2:3], off offset:8 scope:SCOPE_SYS
.LBB0_797:                              ;   in Loop: Header=BB0_137 Depth=1
	s_wait_xcnt 0x0
	s_or_b32 exec_lo, exec_lo, s34
	s_wait_loadcnt 0x0
	global_load_b64 v[20:21], v[18:19], off offset:16
	s_wait_loadcnt 0x0
	v_cmp_eq_u64_e32 vcc_lo, 0, v[20:21]
	s_cbranch_vccnz .LBB0_799
; %bb.798:                              ;   in Loop: Header=BB0_137 Depth=1
	global_load_b32 v2, v[18:19], off offset:24
	s_wait_loadcnt 0x0
	v_readfirstlane_b32 s34, v2
	global_wb scope:SCOPE_SYS
	s_wait_storecnt 0x0
	s_wait_xcnt 0x0
	global_store_b64 v[20:21], v[2:3], off scope:SCOPE_SYS
	s_and_b32 m0, s34, 0xffffff
	s_sendmsg sendmsg(MSG_INTERRUPT)
.LBB0_799:                              ;   in Loop: Header=BB0_137 Depth=1
	s_wait_xcnt 0x0
	s_or_b32 exec_lo, exec_lo, s1
	v_mov_b32_e32 v1, v3
	s_delay_alu instid0(VALU_DEP_1)
	v_add_nc_u64_e32 v[18:19], v[24:25], v[0:1]
	s_branch .LBB0_803
.LBB0_800:                              ;   in Loop: Header=BB0_803 Depth=2
	s_wait_xcnt 0x0
	s_or_b32 exec_lo, exec_lo, s1
	s_delay_alu instid0(VALU_DEP_1)
	v_readfirstlane_b32 s1, v1
	s_cmp_eq_u32 s1, 0
	s_cbranch_scc1 .LBB0_802
; %bb.801:                              ;   in Loop: Header=BB0_803 Depth=2
	s_sleep 1
	s_cbranch_execnz .LBB0_803
	s_branch .LBB0_805
.LBB0_802:                              ;   in Loop: Header=BB0_137 Depth=1
	s_branch .LBB0_805
.LBB0_803:                              ;   Parent Loop BB0_137 Depth=1
                                        ; =>  This Inner Loop Header: Depth=2
	v_mov_b32_e32 v1, 1
	s_and_saveexec_b32 s1, s0
	s_cbranch_execz .LBB0_800
; %bb.804:                              ;   in Loop: Header=BB0_803 Depth=2
	global_load_b32 v1, v[8:9], off offset:20 scope:SCOPE_SYS
	s_wait_loadcnt 0x0
	global_inv scope:SCOPE_SYS
	v_and_b32_e32 v1, 1, v1
	s_branch .LBB0_800
.LBB0_805:                              ;   in Loop: Header=BB0_137 Depth=1
	global_load_b64 v[20:21], v[18:19], off
	s_wait_xcnt 0x0
	s_and_saveexec_b32 s34, s0
	s_cbranch_execz .LBB0_809
; %bb.806:                              ;   in Loop: Header=BB0_137 Depth=1
	s_clause 0x2
	global_load_b64 v[8:9], v3, s[16:17] offset:40
	global_load_b64 v[26:27], v3, s[16:17] offset:24 scope:SCOPE_SYS
	global_load_b64 v[18:19], v3, s[16:17]
	s_wait_loadcnt 0x2
	v_readfirstlane_b32 s36, v8
	v_readfirstlane_b32 s37, v9
	s_add_nc_u64 s[0:1], s[36:37], 1
	s_delay_alu instid0(SALU_CYCLE_1) | instskip(NEXT) | instid1(SALU_CYCLE_1)
	s_add_nc_u64 s[30:31], s[0:1], s[30:31]
	s_cmp_eq_u64 s[30:31], 0
	s_cselect_b32 s1, s1, s31
	s_cselect_b32 s0, s0, s30
	s_delay_alu instid0(SALU_CYCLE_1) | instskip(SKIP_1) | instid1(SALU_CYCLE_1)
	v_dual_mov_b32 v25, s1 :: v_dual_mov_b32 v24, s0
	s_and_b64 s[30:31], s[0:1], s[36:37]
	s_mul_u64 s[30:31], s[30:31], 24
	s_wait_loadcnt 0x0
	v_add_nc_u64_e32 v[8:9], s[30:31], v[18:19]
	global_store_b64 v[8:9], v[26:27], off
	global_wb scope:SCOPE_SYS
	s_wait_storecnt 0x0
	s_wait_xcnt 0x0
	global_atomic_cmpswap_b64 v[24:25], v3, v[24:27], s[16:17] offset:24 th:TH_ATOMIC_RETURN scope:SCOPE_SYS
	s_wait_loadcnt 0x0
	v_cmp_ne_u64_e32 vcc_lo, v[24:25], v[26:27]
	s_and_b32 exec_lo, exec_lo, vcc_lo
	s_cbranch_execz .LBB0_809
; %bb.807:                              ;   in Loop: Header=BB0_137 Depth=1
	s_mov_b32 s30, 0
.LBB0_808:                              ;   Parent Loop BB0_137 Depth=1
                                        ; =>  This Inner Loop Header: Depth=2
	v_dual_mov_b32 v22, s0 :: v_dual_mov_b32 v23, s1
	s_sleep 1
	global_store_b64 v[8:9], v[24:25], off
	global_wb scope:SCOPE_SYS
	s_wait_storecnt 0x0
	s_wait_xcnt 0x0
	global_atomic_cmpswap_b64 v[18:19], v3, v[22:25], s[16:17] offset:24 th:TH_ATOMIC_RETURN scope:SCOPE_SYS
	s_wait_loadcnt 0x0
	v_cmp_eq_u64_e32 vcc_lo, v[18:19], v[24:25]
	v_mov_b64_e32 v[24:25], v[18:19]
	s_or_b32 s30, vcc_lo, s30
	s_delay_alu instid0(SALU_CYCLE_1)
	s_and_not1_b32 exec_lo, exec_lo, s30
	s_cbranch_execnz .LBB0_808
.LBB0_809:                              ;   in Loop: Header=BB0_137 Depth=1
	s_or_b32 exec_lo, exec_lo, s34
.LBB0_810:                              ;   in Loop: Header=BB0_137 Depth=1
	v_readfirstlane_b32 s0, v46
	v_mov_b64_e32 v[8:9], 0
	s_delay_alu instid0(VALU_DEP_2)
	v_cmp_eq_u32_e64 s0, s0, v46
	s_and_saveexec_b32 s1, s0
	s_cbranch_execz .LBB0_816
; %bb.811:                              ;   in Loop: Header=BB0_137 Depth=1
	global_load_b64 v[24:25], v3, s[16:17] offset:24 scope:SCOPE_SYS
	s_wait_loadcnt 0x0
	global_inv scope:SCOPE_SYS
	s_clause 0x1
	global_load_b64 v[8:9], v3, s[16:17] offset:40
	global_load_b64 v[18:19], v3, s[16:17]
	s_mov_b32 s30, exec_lo
	s_wait_loadcnt 0x1
	v_and_b32_e32 v8, v8, v24
	v_and_b32_e32 v9, v9, v25
	s_delay_alu instid0(VALU_DEP_1) | instskip(SKIP_1) | instid1(VALU_DEP_1)
	v_mul_u64_e32 v[8:9], 24, v[8:9]
	s_wait_loadcnt 0x0
	v_add_nc_u64_e32 v[8:9], v[18:19], v[8:9]
	global_load_b64 v[22:23], v[8:9], off scope:SCOPE_SYS
	s_wait_xcnt 0x0
	s_wait_loadcnt 0x0
	global_atomic_cmpswap_b64 v[8:9], v3, v[22:25], s[16:17] offset:24 th:TH_ATOMIC_RETURN scope:SCOPE_SYS
	s_wait_loadcnt 0x0
	global_inv scope:SCOPE_SYS
	s_wait_xcnt 0x0
	v_cmpx_ne_u64_e64 v[8:9], v[24:25]
	s_cbranch_execz .LBB0_815
; %bb.812:                              ;   in Loop: Header=BB0_137 Depth=1
	s_mov_b32 s31, 0
.LBB0_813:                              ;   Parent Loop BB0_137 Depth=1
                                        ; =>  This Inner Loop Header: Depth=2
	s_sleep 1
	s_clause 0x1
	global_load_b64 v[18:19], v3, s[16:17] offset:40
	global_load_b64 v[22:23], v3, s[16:17]
	v_mov_b64_e32 v[24:25], v[8:9]
	s_wait_loadcnt 0x1
	s_delay_alu instid0(VALU_DEP_1) | instskip(SKIP_1) | instid1(VALU_DEP_1)
	v_and_b32_e32 v1, v18, v24
	s_wait_loadcnt 0x0
	v_mad_nc_u64_u32 v[8:9], v1, 24, v[22:23]
	s_delay_alu instid0(VALU_DEP_3) | instskip(NEXT) | instid1(VALU_DEP_1)
	v_and_b32_e32 v1, v19, v25
	v_mad_u32 v9, v1, 24, v9
	global_load_b64 v[22:23], v[8:9], off scope:SCOPE_SYS
	s_wait_xcnt 0x0
	s_wait_loadcnt 0x0
	global_atomic_cmpswap_b64 v[8:9], v3, v[22:25], s[16:17] offset:24 th:TH_ATOMIC_RETURN scope:SCOPE_SYS
	s_wait_loadcnt 0x0
	global_inv scope:SCOPE_SYS
	v_cmp_eq_u64_e32 vcc_lo, v[8:9], v[24:25]
	s_or_b32 s31, vcc_lo, s31
	s_wait_xcnt 0x0
	s_and_not1_b32 exec_lo, exec_lo, s31
	s_cbranch_execnz .LBB0_813
; %bb.814:                              ;   in Loop: Header=BB0_137 Depth=1
	s_or_b32 exec_lo, exec_lo, s31
.LBB0_815:                              ;   in Loop: Header=BB0_137 Depth=1
	s_delay_alu instid0(SALU_CYCLE_1)
	s_or_b32 exec_lo, exec_lo, s30
.LBB0_816:                              ;   in Loop: Header=BB0_137 Depth=1
	s_delay_alu instid0(SALU_CYCLE_1)
	s_or_b32 exec_lo, exec_lo, s1
	s_wait_loadcnt 0x0
	s_clause 0x1
	global_load_b64 v[18:19], v3, s[16:17] offset:40
	global_load_b128 v[24:27], v3, s[16:17]
	v_readfirstlane_b32 s30, v8
	v_readfirstlane_b32 s31, v9
	s_mov_b32 s1, exec_lo
	s_wait_loadcnt 0x1
	v_and_b32_e32 v18, s30, v18
	v_and_b32_e32 v19, s31, v19
	s_delay_alu instid0(VALU_DEP_1) | instskip(SKIP_1) | instid1(VALU_DEP_1)
	v_mul_u64_e32 v[8:9], 24, v[18:19]
	s_wait_loadcnt 0x0
	v_add_nc_u64_e32 v[8:9], v[24:25], v[8:9]
	s_wait_xcnt 0x0
	s_and_saveexec_b32 s34, s0
	s_cbranch_execz .LBB0_818
; %bb.817:                              ;   in Loop: Header=BB0_137 Depth=1
	v_mov_b32_e32 v2, s1
	global_store_b128 v[8:9], v[2:5], off offset:8
.LBB0_818:                              ;   in Loop: Header=BB0_137 Depth=1
	s_wait_xcnt 0x0
	s_or_b32 exec_lo, exec_lo, s34
	v_lshlrev_b64_e32 v[18:19], 12, v[18:19]
	s_ashr_i32 s1, s43, 1
	v_and_or_b32 v20, 0xffffff1d, v20, 34
	v_dual_mov_b32 v23, v3 :: v_dual_mov_b32 v22, s1
	s_delay_alu instid0(VALU_DEP_3) | instskip(SKIP_2) | instid1(VALU_DEP_3)
	v_add_nc_u64_e32 v[18:19], v[26:27], v[18:19]
	v_mov_b64_e32 v[28:29], s[10:11]
	v_mov_b64_e32 v[26:27], s[8:9]
	v_readfirstlane_b32 s34, v18
	s_delay_alu instid0(VALU_DEP_4)
	v_readfirstlane_b32 s35, v19
	s_clause 0x3
	global_store_b128 v0, v[20:23], s[34:35]
	global_store_b128 v0, v[26:29], s[34:35] offset:16
	global_store_b128 v0, v[26:29], s[34:35] offset:32
	;; [unrolled: 1-line block ×3, first 2 shown]
	s_wait_xcnt 0x0
	s_and_saveexec_b32 s1, s0
	s_cbranch_execz .LBB0_826
; %bb.819:                              ;   in Loop: Header=BB0_137 Depth=1
	s_clause 0x1
	global_load_b64 v[26:27], v3, s[16:17] offset:32 scope:SCOPE_SYS
	global_load_b64 v[18:19], v3, s[16:17] offset:40
	s_mov_b32 s34, exec_lo
	s_wait_loadcnt 0x0
	v_and_b32_e32 v18, s30, v18
	v_and_b32_e32 v19, s31, v19
	s_delay_alu instid0(VALU_DEP_1) | instskip(NEXT) | instid1(VALU_DEP_1)
	v_mul_u64_e32 v[18:19], 24, v[18:19]
	v_add_nc_u64_e32 v[22:23], v[24:25], v[18:19]
	v_dual_mov_b32 v24, s30 :: v_dual_mov_b32 v25, s31
	global_store_b64 v[22:23], v[26:27], off
	global_wb scope:SCOPE_SYS
	s_wait_storecnt 0x0
	s_wait_xcnt 0x0
	global_atomic_cmpswap_b64 v[20:21], v3, v[24:27], s[16:17] offset:32 th:TH_ATOMIC_RETURN scope:SCOPE_SYS
	s_wait_loadcnt 0x0
	v_cmpx_ne_u64_e64 v[20:21], v[26:27]
	s_cbranch_execz .LBB0_822
; %bb.820:                              ;   in Loop: Header=BB0_137 Depth=1
	s_mov_b32 s35, 0
.LBB0_821:                              ;   Parent Loop BB0_137 Depth=1
                                        ; =>  This Inner Loop Header: Depth=2
	v_dual_mov_b32 v18, s30 :: v_dual_mov_b32 v19, s31
	s_sleep 1
	global_store_b64 v[22:23], v[20:21], off
	global_wb scope:SCOPE_SYS
	s_wait_storecnt 0x0
	s_wait_xcnt 0x0
	global_atomic_cmpswap_b64 v[18:19], v3, v[18:21], s[16:17] offset:32 th:TH_ATOMIC_RETURN scope:SCOPE_SYS
	s_wait_loadcnt 0x0
	v_cmp_eq_u64_e32 vcc_lo, v[18:19], v[20:21]
	v_mov_b64_e32 v[20:21], v[18:19]
	s_or_b32 s35, vcc_lo, s35
	s_delay_alu instid0(SALU_CYCLE_1)
	s_and_not1_b32 exec_lo, exec_lo, s35
	s_cbranch_execnz .LBB0_821
.LBB0_822:                              ;   in Loop: Header=BB0_137 Depth=1
	s_or_b32 exec_lo, exec_lo, s34
	global_load_b64 v[18:19], v3, s[16:17] offset:16
	s_mov_b32 s35, exec_lo
	s_mov_b32 s34, exec_lo
	v_mbcnt_lo_u32_b32 v1, s35, 0
	s_wait_xcnt 0x0
	s_delay_alu instid0(VALU_DEP_1)
	v_cmpx_eq_u32_e32 0, v1
	s_cbranch_execz .LBB0_824
; %bb.823:                              ;   in Loop: Header=BB0_137 Depth=1
	s_bcnt1_i32_b32 s35, s35
	s_delay_alu instid0(SALU_CYCLE_1)
	v_mov_b32_e32 v2, s35
	global_wb scope:SCOPE_SYS
	s_wait_loadcnt 0x0
	s_wait_storecnt 0x0
	global_atomic_add_u64 v[18:19], v[2:3], off offset:8 scope:SCOPE_SYS
.LBB0_824:                              ;   in Loop: Header=BB0_137 Depth=1
	s_wait_xcnt 0x0
	s_or_b32 exec_lo, exec_lo, s34
	s_wait_loadcnt 0x0
	global_load_b64 v[20:21], v[18:19], off offset:16
	s_wait_loadcnt 0x0
	v_cmp_eq_u64_e32 vcc_lo, 0, v[20:21]
	s_cbranch_vccnz .LBB0_826
; %bb.825:                              ;   in Loop: Header=BB0_137 Depth=1
	global_load_b32 v2, v[18:19], off offset:24
	s_wait_loadcnt 0x0
	v_readfirstlane_b32 s34, v2
	global_wb scope:SCOPE_SYS
	s_wait_storecnt 0x0
	s_wait_xcnt 0x0
	global_store_b64 v[20:21], v[2:3], off scope:SCOPE_SYS
	s_and_b32 m0, s34, 0xffffff
	s_sendmsg sendmsg(MSG_INTERRUPT)
.LBB0_826:                              ;   in Loop: Header=BB0_137 Depth=1
	s_wait_xcnt 0x0
	s_or_b32 exec_lo, exec_lo, s1
	s_branch .LBB0_830
.LBB0_827:                              ;   in Loop: Header=BB0_830 Depth=2
	s_wait_xcnt 0x0
	s_or_b32 exec_lo, exec_lo, s1
	s_delay_alu instid0(VALU_DEP_1)
	v_readfirstlane_b32 s1, v1
	s_cmp_eq_u32 s1, 0
	s_cbranch_scc1 .LBB0_829
; %bb.828:                              ;   in Loop: Header=BB0_830 Depth=2
	s_sleep 1
	s_cbranch_execnz .LBB0_830
	s_branch .LBB0_832
.LBB0_829:                              ;   in Loop: Header=BB0_137 Depth=1
	s_branch .LBB0_832
.LBB0_830:                              ;   Parent Loop BB0_137 Depth=1
                                        ; =>  This Inner Loop Header: Depth=2
	v_mov_b32_e32 v1, 1
	s_and_saveexec_b32 s1, s0
	s_cbranch_execz .LBB0_827
; %bb.831:                              ;   in Loop: Header=BB0_830 Depth=2
	global_load_b32 v1, v[8:9], off offset:20 scope:SCOPE_SYS
	s_wait_loadcnt 0x0
	global_inv scope:SCOPE_SYS
	v_and_b32_e32 v1, 1, v1
	s_branch .LBB0_827
.LBB0_832:                              ;   in Loop: Header=BB0_137 Depth=1
	s_and_saveexec_b32 s34, s0
	s_cbranch_execz .LBB0_136
; %bb.833:                              ;   in Loop: Header=BB0_137 Depth=1
	s_clause 0x2
	global_load_b64 v[8:9], v3, s[16:17] offset:40
	global_load_b64 v[22:23], v3, s[16:17] offset:24 scope:SCOPE_SYS
	global_load_b64 v[18:19], v3, s[16:17]
	s_wait_loadcnt 0x2
	v_readfirstlane_b32 s36, v8
	v_readfirstlane_b32 s37, v9
	s_add_nc_u64 s[0:1], s[36:37], 1
	s_delay_alu instid0(SALU_CYCLE_1) | instskip(NEXT) | instid1(SALU_CYCLE_1)
	s_add_nc_u64 s[30:31], s[0:1], s[30:31]
	s_cmp_eq_u64 s[30:31], 0
	s_cselect_b32 s1, s1, s31
	s_cselect_b32 s0, s0, s30
	s_delay_alu instid0(SALU_CYCLE_1) | instskip(SKIP_1) | instid1(SALU_CYCLE_1)
	v_dual_mov_b32 v21, s1 :: v_dual_mov_b32 v20, s0
	s_and_b64 s[30:31], s[0:1], s[36:37]
	s_mul_u64 s[30:31], s[30:31], 24
	s_wait_loadcnt 0x0
	v_add_nc_u64_e32 v[8:9], s[30:31], v[18:19]
	global_store_b64 v[8:9], v[22:23], off
	global_wb scope:SCOPE_SYS
	s_wait_storecnt 0x0
	s_wait_xcnt 0x0
	global_atomic_cmpswap_b64 v[20:21], v3, v[20:23], s[16:17] offset:24 th:TH_ATOMIC_RETURN scope:SCOPE_SYS
	s_wait_loadcnt 0x0
	v_cmp_ne_u64_e32 vcc_lo, v[20:21], v[22:23]
	s_and_b32 exec_lo, exec_lo, vcc_lo
	s_cbranch_execz .LBB0_136
; %bb.834:                              ;   in Loop: Header=BB0_137 Depth=1
	s_mov_b32 s30, 0
.LBB0_835:                              ;   Parent Loop BB0_137 Depth=1
                                        ; =>  This Inner Loop Header: Depth=2
	v_dual_mov_b32 v18, s0 :: v_dual_mov_b32 v19, s1
	s_sleep 1
	global_store_b64 v[8:9], v[20:21], off
	global_wb scope:SCOPE_SYS
	s_wait_storecnt 0x0
	s_wait_xcnt 0x0
	global_atomic_cmpswap_b64 v[18:19], v3, v[18:21], s[16:17] offset:24 th:TH_ATOMIC_RETURN scope:SCOPE_SYS
	s_wait_loadcnt 0x0
	v_cmp_eq_u64_e32 vcc_lo, v[18:19], v[20:21]
	v_mov_b64_e32 v[20:21], v[18:19]
	s_or_b32 s30, vcc_lo, s30
	s_delay_alu instid0(SALU_CYCLE_1)
	s_and_not1_b32 exec_lo, exec_lo, s30
	s_cbranch_execnz .LBB0_835
	s_branch .LBB0_136
.LBB0_836:
	s_cmp_lt_i32 s13, 1
	s_cbranch_scc1 .LBB0_1109
; %bb.837:
	s_mov_b32 s4, 0
	s_wait_loadcnt 0x0
	v_dual_mov_b32 v3, 0 :: v_dual_mov_b32 v36, v0
	s_mov_b32 s6, s4
	s_mov_b32 s7, s4
	;; [unrolled: 1-line block ×3, first 2 shown]
	v_mov_b64_e32 v[12:13], s[6:7]
	v_mov_b64_e32 v[4:5], 0x100000002
	;; [unrolled: 1-line block ×3, first 2 shown]
	v_dual_mov_b32 v6, 33 :: v_dual_mov_b32 v37, v3
	v_dual_mov_b32 v7, v3 :: v_dual_mov_b32 v8, v3
	v_mov_b32_e32 v9, v3
	s_cmp_lg_u64 s[18:19], 0
	s_mov_b32 s28, s4
	s_cselect_b32 s12, -1, 0
	s_branch .LBB0_839
.LBB0_838:                              ;   in Loop: Header=BB0_839 Depth=1
	s_or_b32 exec_lo, exec_lo, s10
	s_add_co_i32 s28, s28, 1
	s_delay_alu instid0(SALU_CYCLE_1)
	s_cmp_lg_u32 s28, s13
	s_cbranch_scc0 .LBB0_1109
.LBB0_839:                              ; =>This Loop Header: Depth=1
                                        ;     Child Loop BB0_842 Depth 2
                                        ;     Child Loop BB0_850 Depth 2
	;; [unrolled: 1-line block ×9, first 2 shown]
                                        ;       Child Loop BB0_871 Depth 3
                                        ;       Child Loop BB0_878 Depth 3
	;; [unrolled: 1-line block ×11, first 2 shown]
                                        ;     Child Loop BB0_974 Depth 2
                                        ;     Child Loop BB0_1059 Depth 2
	;; [unrolled: 1-line block ×6, first 2 shown]
                                        ;       Child Loop BB0_982 Depth 3
                                        ;       Child Loop BB0_989 Depth 3
	;; [unrolled: 1-line block ×11, first 2 shown]
                                        ;     Child Loop BB0_1086 Depth 2
                                        ;     Child Loop BB0_1094 Depth 2
	;; [unrolled: 1-line block ×4, first 2 shown]
	v_mov_b32_e32 v1, s28
	v_readfirstlane_b32 s0, v46
	v_mov_b64_e32 v[18:19], 0
	global_load_b32 v1, v1, s[2:3] scale_offset
	v_cmp_eq_u32_e64 s0, s0, v46
	s_wait_loadcnt 0x0
	v_readfirstlane_b32 s29, v1
	s_wait_xcnt 0x0
	s_and_saveexec_b32 s1, s0
	s_cbranch_execz .LBB0_845
; %bb.840:                              ;   in Loop: Header=BB0_839 Depth=1
	global_load_b64 v[16:17], v3, s[16:17] offset:24 scope:SCOPE_SYS
	s_wait_loadcnt 0x0
	global_inv scope:SCOPE_SYS
	s_clause 0x1
	global_load_b64 v[14:15], v3, s[16:17] offset:40
	global_load_b64 v[18:19], v3, s[16:17]
	s_mov_b32 s8, exec_lo
	s_wait_loadcnt 0x1
	v_and_b32_e32 v14, v14, v16
	v_and_b32_e32 v15, v15, v17
	s_delay_alu instid0(VALU_DEP_1) | instskip(SKIP_1) | instid1(VALU_DEP_1)
	v_mul_u64_e32 v[14:15], 24, v[14:15]
	s_wait_loadcnt 0x0
	v_add_nc_u64_e32 v[14:15], v[18:19], v[14:15]
	global_load_b64 v[14:15], v[14:15], off scope:SCOPE_SYS
	s_wait_xcnt 0x0
	s_wait_loadcnt 0x0
	global_atomic_cmpswap_b64 v[18:19], v3, v[14:17], s[16:17] offset:24 th:TH_ATOMIC_RETURN scope:SCOPE_SYS
	s_wait_loadcnt 0x0
	global_inv scope:SCOPE_SYS
	s_wait_xcnt 0x0
	v_cmpx_ne_u64_e64 v[18:19], v[16:17]
	s_cbranch_execz .LBB0_844
; %bb.841:                              ;   in Loop: Header=BB0_839 Depth=1
	s_mov_b32 s9, 0
.LBB0_842:                              ;   Parent Loop BB0_839 Depth=1
                                        ; =>  This Inner Loop Header: Depth=2
	s_sleep 1
	s_clause 0x1
	global_load_b64 v[14:15], v3, s[16:17] offset:40
	global_load_b64 v[20:21], v3, s[16:17]
	v_mov_b64_e32 v[16:17], v[18:19]
	s_wait_loadcnt 0x1
	s_delay_alu instid0(VALU_DEP_1) | instskip(SKIP_1) | instid1(VALU_DEP_1)
	v_and_b32_e32 v1, v14, v16
	s_wait_loadcnt 0x0
	v_mad_nc_u64_u32 v[18:19], v1, 24, v[20:21]
	s_delay_alu instid0(VALU_DEP_3) | instskip(NEXT) | instid1(VALU_DEP_1)
	v_and_b32_e32 v1, v15, v17
	v_mad_u32 v19, v1, 24, v19
	global_load_b64 v[14:15], v[18:19], off scope:SCOPE_SYS
	s_wait_xcnt 0x0
	s_wait_loadcnt 0x0
	global_atomic_cmpswap_b64 v[18:19], v3, v[14:17], s[16:17] offset:24 th:TH_ATOMIC_RETURN scope:SCOPE_SYS
	s_wait_loadcnt 0x0
	global_inv scope:SCOPE_SYS
	v_cmp_eq_u64_e32 vcc_lo, v[18:19], v[16:17]
	s_or_b32 s9, vcc_lo, s9
	s_wait_xcnt 0x0
	s_and_not1_b32 exec_lo, exec_lo, s9
	s_cbranch_execnz .LBB0_842
; %bb.843:                              ;   in Loop: Header=BB0_839 Depth=1
	s_or_b32 exec_lo, exec_lo, s9
.LBB0_844:                              ;   in Loop: Header=BB0_839 Depth=1
	s_delay_alu instid0(SALU_CYCLE_1)
	s_or_b32 exec_lo, exec_lo, s8
.LBB0_845:                              ;   in Loop: Header=BB0_839 Depth=1
	s_delay_alu instid0(SALU_CYCLE_1)
	s_or_b32 exec_lo, exec_lo, s1
	s_clause 0x1
	global_load_b64 v[20:21], v3, s[16:17] offset:40
	global_load_b128 v[14:17], v3, s[16:17]
	v_readfirstlane_b32 s8, v18
	v_readfirstlane_b32 s9, v19
	s_mov_b32 s1, exec_lo
	s_wait_loadcnt 0x1
	v_and_b32_e32 v20, s8, v20
	v_and_b32_e32 v21, s9, v21
	s_delay_alu instid0(VALU_DEP_1) | instskip(SKIP_1) | instid1(VALU_DEP_1)
	v_mul_u64_e32 v[18:19], 24, v[20:21]
	s_wait_loadcnt 0x0
	v_add_nc_u64_e32 v[18:19], v[14:15], v[18:19]
	s_wait_xcnt 0x0
	s_and_saveexec_b32 s10, s0
	s_cbranch_execz .LBB0_847
; %bb.846:                              ;   in Loop: Header=BB0_839 Depth=1
	v_mov_b32_e32 v2, s1
	global_store_b128 v[18:19], v[2:5], off offset:8
.LBB0_847:                              ;   in Loop: Header=BB0_839 Depth=1
	s_wait_xcnt 0x0
	s_or_b32 exec_lo, exec_lo, s10
	v_lshlrev_b64_e32 v[20:21], 12, v[20:21]
	s_delay_alu instid0(VALU_DEP_1) | instskip(NEXT) | instid1(VALU_DEP_1)
	v_add_nc_u64_e32 v[20:21], v[16:17], v[20:21]
	v_readfirstlane_b32 s10, v20
	s_delay_alu instid0(VALU_DEP_2)
	v_readfirstlane_b32 s11, v21
	s_clause 0x3
	global_store_b128 v0, v[6:9], s[10:11]
	global_store_b128 v0, v[10:13], s[10:11] offset:16
	global_store_b128 v0, v[10:13], s[10:11] offset:32
	;; [unrolled: 1-line block ×3, first 2 shown]
	s_wait_xcnt 0x0
	s_and_saveexec_b32 s1, s0
	s_cbranch_execz .LBB0_855
; %bb.848:                              ;   in Loop: Header=BB0_839 Depth=1
	s_clause 0x1
	global_load_b64 v[26:27], v3, s[16:17] offset:32 scope:SCOPE_SYS
	global_load_b64 v[16:17], v3, s[16:17] offset:40
	s_mov_b32 s10, exec_lo
	v_dual_mov_b32 v24, s8 :: v_dual_mov_b32 v25, s9
	s_wait_loadcnt 0x0
	v_and_b32_e32 v17, s9, v17
	v_and_b32_e32 v16, s8, v16
	s_delay_alu instid0(VALU_DEP_1) | instskip(NEXT) | instid1(VALU_DEP_1)
	v_mul_u64_e32 v[16:17], 24, v[16:17]
	v_add_nc_u64_e32 v[22:23], v[14:15], v[16:17]
	global_store_b64 v[22:23], v[26:27], off
	global_wb scope:SCOPE_SYS
	s_wait_storecnt 0x0
	s_wait_xcnt 0x0
	global_atomic_cmpswap_b64 v[16:17], v3, v[24:27], s[16:17] offset:32 th:TH_ATOMIC_RETURN scope:SCOPE_SYS
	s_wait_loadcnt 0x0
	v_cmpx_ne_u64_e64 v[16:17], v[26:27]
	s_cbranch_execz .LBB0_851
; %bb.849:                              ;   in Loop: Header=BB0_839 Depth=1
	s_mov_b32 s11, 0
.LBB0_850:                              ;   Parent Loop BB0_839 Depth=1
                                        ; =>  This Inner Loop Header: Depth=2
	v_dual_mov_b32 v14, s8 :: v_dual_mov_b32 v15, s9
	s_sleep 1
	global_store_b64 v[22:23], v[16:17], off
	global_wb scope:SCOPE_SYS
	s_wait_storecnt 0x0
	s_wait_xcnt 0x0
	global_atomic_cmpswap_b64 v[14:15], v3, v[14:17], s[16:17] offset:32 th:TH_ATOMIC_RETURN scope:SCOPE_SYS
	s_wait_loadcnt 0x0
	v_cmp_eq_u64_e32 vcc_lo, v[14:15], v[16:17]
	v_mov_b64_e32 v[16:17], v[14:15]
	s_or_b32 s11, vcc_lo, s11
	s_delay_alu instid0(SALU_CYCLE_1)
	s_and_not1_b32 exec_lo, exec_lo, s11
	s_cbranch_execnz .LBB0_850
.LBB0_851:                              ;   in Loop: Header=BB0_839 Depth=1
	s_or_b32 exec_lo, exec_lo, s10
	global_load_b64 v[14:15], v3, s[16:17] offset:16
	s_mov_b32 s11, exec_lo
	s_mov_b32 s10, exec_lo
	v_mbcnt_lo_u32_b32 v1, s11, 0
	s_wait_xcnt 0x0
	s_delay_alu instid0(VALU_DEP_1)
	v_cmpx_eq_u32_e32 0, v1
	s_cbranch_execz .LBB0_853
; %bb.852:                              ;   in Loop: Header=BB0_839 Depth=1
	s_bcnt1_i32_b32 s11, s11
	s_delay_alu instid0(SALU_CYCLE_1)
	v_mov_b32_e32 v2, s11
	global_wb scope:SCOPE_SYS
	s_wait_loadcnt 0x0
	s_wait_storecnt 0x0
	global_atomic_add_u64 v[14:15], v[2:3], off offset:8 scope:SCOPE_SYS
.LBB0_853:                              ;   in Loop: Header=BB0_839 Depth=1
	s_wait_xcnt 0x0
	s_or_b32 exec_lo, exec_lo, s10
	s_wait_loadcnt 0x0
	global_load_b64 v[16:17], v[14:15], off offset:16
	s_wait_loadcnt 0x0
	v_cmp_eq_u64_e32 vcc_lo, 0, v[16:17]
	s_cbranch_vccnz .LBB0_855
; %bb.854:                              ;   in Loop: Header=BB0_839 Depth=1
	global_load_b32 v2, v[14:15], off offset:24
	s_wait_loadcnt 0x0
	v_readfirstlane_b32 s10, v2
	global_wb scope:SCOPE_SYS
	s_wait_storecnt 0x0
	s_wait_xcnt 0x0
	global_store_b64 v[16:17], v[2:3], off scope:SCOPE_SYS
	s_and_b32 m0, s10, 0xffffff
	s_sendmsg sendmsg(MSG_INTERRUPT)
.LBB0_855:                              ;   in Loop: Header=BB0_839 Depth=1
	s_wait_xcnt 0x0
	s_or_b32 exec_lo, exec_lo, s1
	v_add_nc_u64_e32 v[14:15], v[20:21], v[36:37]
	s_branch .LBB0_859
.LBB0_856:                              ;   in Loop: Header=BB0_859 Depth=2
	s_wait_xcnt 0x0
	s_or_b32 exec_lo, exec_lo, s1
	s_delay_alu instid0(VALU_DEP_1)
	v_readfirstlane_b32 s1, v1
	s_cmp_eq_u32 s1, 0
	s_cbranch_scc1 .LBB0_858
; %bb.857:                              ;   in Loop: Header=BB0_859 Depth=2
	s_sleep 1
	s_cbranch_execnz .LBB0_859
	s_branch .LBB0_861
.LBB0_858:                              ;   in Loop: Header=BB0_839 Depth=1
	s_branch .LBB0_861
.LBB0_859:                              ;   Parent Loop BB0_839 Depth=1
                                        ; =>  This Inner Loop Header: Depth=2
	v_mov_b32_e32 v1, 1
	s_and_saveexec_b32 s1, s0
	s_cbranch_execz .LBB0_856
; %bb.860:                              ;   in Loop: Header=BB0_859 Depth=2
	global_load_b32 v1, v[18:19], off offset:20 scope:SCOPE_SYS
	s_wait_loadcnt 0x0
	global_inv scope:SCOPE_SYS
	v_and_b32_e32 v1, 1, v1
	s_branch .LBB0_856
.LBB0_861:                              ;   in Loop: Header=BB0_839 Depth=1
	global_load_b64 v[18:19], v[14:15], off
	s_wait_xcnt 0x0
	s_and_saveexec_b32 s10, s0
	s_cbranch_execz .LBB0_865
; %bb.862:                              ;   in Loop: Header=BB0_839 Depth=1
	s_clause 0x2
	global_load_b64 v[14:15], v3, s[16:17] offset:40
	global_load_b64 v[24:25], v3, s[16:17] offset:24 scope:SCOPE_SYS
	global_load_b64 v[16:17], v3, s[16:17]
	s_wait_loadcnt 0x2
	v_readfirstlane_b32 s14, v14
	v_readfirstlane_b32 s15, v15
	s_add_nc_u64 s[0:1], s[14:15], 1
	s_delay_alu instid0(SALU_CYCLE_1) | instskip(NEXT) | instid1(SALU_CYCLE_1)
	s_add_nc_u64 s[8:9], s[0:1], s[8:9]
	s_cmp_eq_u64 s[8:9], 0
	s_cselect_b32 s1, s1, s9
	s_cselect_b32 s0, s0, s8
	s_delay_alu instid0(SALU_CYCLE_1) | instskip(SKIP_1) | instid1(SALU_CYCLE_1)
	v_dual_mov_b32 v23, s1 :: v_dual_mov_b32 v22, s0
	s_and_b64 s[8:9], s[0:1], s[14:15]
	s_mul_u64 s[8:9], s[8:9], 24
	s_wait_loadcnt 0x0
	v_add_nc_u64_e32 v[20:21], s[8:9], v[16:17]
	global_store_b64 v[20:21], v[24:25], off
	global_wb scope:SCOPE_SYS
	s_wait_storecnt 0x0
	s_wait_xcnt 0x0
	global_atomic_cmpswap_b64 v[16:17], v3, v[22:25], s[16:17] offset:24 th:TH_ATOMIC_RETURN scope:SCOPE_SYS
	s_wait_loadcnt 0x0
	v_cmp_ne_u64_e32 vcc_lo, v[16:17], v[24:25]
	s_and_b32 exec_lo, exec_lo, vcc_lo
	s_cbranch_execz .LBB0_865
; %bb.863:                              ;   in Loop: Header=BB0_839 Depth=1
	s_mov_b32 s8, 0
.LBB0_864:                              ;   Parent Loop BB0_839 Depth=1
                                        ; =>  This Inner Loop Header: Depth=2
	v_dual_mov_b32 v14, s0 :: v_dual_mov_b32 v15, s1
	s_sleep 1
	global_store_b64 v[20:21], v[16:17], off
	global_wb scope:SCOPE_SYS
	s_wait_storecnt 0x0
	s_wait_xcnt 0x0
	global_atomic_cmpswap_b64 v[14:15], v3, v[14:17], s[16:17] offset:24 th:TH_ATOMIC_RETURN scope:SCOPE_SYS
	s_wait_loadcnt 0x0
	v_cmp_eq_u64_e32 vcc_lo, v[14:15], v[16:17]
	v_mov_b64_e32 v[16:17], v[14:15]
	s_or_b32 s8, vcc_lo, s8
	s_delay_alu instid0(SALU_CYCLE_1)
	s_and_not1_b32 exec_lo, exec_lo, s8
	s_cbranch_execnz .LBB0_864
.LBB0_865:                              ;   in Loop: Header=BB0_839 Depth=1
	s_or_b32 exec_lo, exec_lo, s10
	s_delay_alu instid0(SALU_CYCLE_1)
	s_and_b32 vcc_lo, exec_lo, s12
	s_cbranch_vccz .LBB0_944
; %bb.866:                              ;   in Loop: Header=BB0_839 Depth=1
	s_wait_loadcnt 0x0
	v_dual_mov_b32 v15, v19 :: v_dual_bitop2_b32 v38, 2, v18 bitop3:0x40
	v_and_b32_e32 v14, -3, v18
	s_mov_b64 s[8:9], 6
	s_mov_b64 s[10:11], s[18:19]
	s_branch .LBB0_868
.LBB0_867:                              ;   in Loop: Header=BB0_868 Depth=2
	s_or_b32 exec_lo, exec_lo, s26
	s_sub_nc_u64 s[8:9], s[8:9], s[14:15]
	s_add_nc_u64 s[10:11], s[10:11], s[14:15]
	s_cmp_lg_u64 s[8:9], 0
	s_cbranch_scc0 .LBB0_943
.LBB0_868:                              ;   Parent Loop BB0_839 Depth=1
                                        ; =>  This Loop Header: Depth=2
                                        ;       Child Loop BB0_871 Depth 3
                                        ;       Child Loop BB0_878 Depth 3
	;; [unrolled: 1-line block ×11, first 2 shown]
	v_min_u64 v[16:17], s[8:9], 56
	v_cmp_gt_u64_e64 s0, s[8:9], 7
	s_and_b32 vcc_lo, exec_lo, s0
	v_readfirstlane_b32 s14, v16
	v_readfirstlane_b32 s15, v17
	s_cbranch_vccnz .LBB0_873
; %bb.869:                              ;   in Loop: Header=BB0_868 Depth=2
	v_mov_b64_e32 v[16:17], 0
	s_cmp_eq_u64 s[8:9], 0
	s_cbranch_scc1 .LBB0_872
; %bb.870:                              ;   in Loop: Header=BB0_868 Depth=2
	s_mov_b64 s[0:1], 0
	s_mov_b64 s[24:25], 0
.LBB0_871:                              ;   Parent Loop BB0_839 Depth=1
                                        ;     Parent Loop BB0_868 Depth=2
                                        ; =>    This Inner Loop Header: Depth=3
	s_wait_xcnt 0x0
	s_add_nc_u64 s[26:27], s[10:11], s[24:25]
	s_add_nc_u64 s[24:25], s[24:25], 1
	global_load_u8 v1, v3, s[26:27]
	s_cmp_lg_u32 s14, s24
	s_wait_loadcnt 0x0
	v_and_b32_e32 v2, 0xffff, v1
	s_delay_alu instid0(VALU_DEP_1) | instskip(SKIP_1) | instid1(VALU_DEP_1)
	v_lshlrev_b64_e32 v[20:21], s0, v[2:3]
	s_add_nc_u64 s[0:1], s[0:1], 8
	v_or_b32_e32 v16, v20, v16
	s_delay_alu instid0(VALU_DEP_2)
	v_or_b32_e32 v17, v21, v17
	s_cbranch_scc1 .LBB0_871
.LBB0_872:                              ;   in Loop: Header=BB0_868 Depth=2
	s_mov_b64 s[0:1], s[10:11]
	s_mov_b32 s30, 0
	s_cbranch_execz .LBB0_874
	s_branch .LBB0_875
.LBB0_873:                              ;   in Loop: Header=BB0_868 Depth=2
	s_add_nc_u64 s[0:1], s[10:11], 8
	s_mov_b32 s30, 0
.LBB0_874:                              ;   in Loop: Header=BB0_868 Depth=2
	global_load_b64 v[16:17], v3, s[10:11]
	s_add_co_i32 s30, s14, -8
.LBB0_875:                              ;   in Loop: Header=BB0_868 Depth=2
	s_delay_alu instid0(SALU_CYCLE_1)
	s_cmp_gt_u32 s30, 7
	s_cbranch_scc1 .LBB0_880
; %bb.876:                              ;   in Loop: Header=BB0_868 Depth=2
	v_mov_b64_e32 v[20:21], 0
	s_cmp_eq_u32 s30, 0
	s_cbranch_scc1 .LBB0_879
; %bb.877:                              ;   in Loop: Header=BB0_868 Depth=2
	s_mov_b64 s[24:25], 0
	s_wait_xcnt 0x0
	s_mov_b64 s[26:27], 0
.LBB0_878:                              ;   Parent Loop BB0_839 Depth=1
                                        ;     Parent Loop BB0_868 Depth=2
                                        ; =>    This Inner Loop Header: Depth=3
	s_wait_xcnt 0x0
	s_add_nc_u64 s[34:35], s[0:1], s[26:27]
	s_add_nc_u64 s[26:27], s[26:27], 1
	global_load_u8 v1, v3, s[34:35]
	s_cmp_lg_u32 s30, s26
	s_wait_loadcnt 0x0
	v_and_b32_e32 v2, 0xffff, v1
	s_delay_alu instid0(VALU_DEP_1) | instskip(SKIP_1) | instid1(VALU_DEP_1)
	v_lshlrev_b64_e32 v[22:23], s24, v[2:3]
	s_add_nc_u64 s[24:25], s[24:25], 8
	v_or_b32_e32 v20, v22, v20
	s_delay_alu instid0(VALU_DEP_2)
	v_or_b32_e32 v21, v23, v21
	s_cbranch_scc1 .LBB0_878
.LBB0_879:                              ;   in Loop: Header=BB0_868 Depth=2
	s_wait_xcnt 0x0
	s_mov_b64 s[24:25], s[0:1]
	s_mov_b32 s31, 0
	s_cbranch_execz .LBB0_881
	s_branch .LBB0_882
.LBB0_880:                              ;   in Loop: Header=BB0_868 Depth=2
	s_add_nc_u64 s[24:25], s[0:1], 8
	s_wait_xcnt 0x0
                                        ; implicit-def: $vgpr20_vgpr21
	s_mov_b32 s31, 0
.LBB0_881:                              ;   in Loop: Header=BB0_868 Depth=2
	global_load_b64 v[20:21], v3, s[0:1]
	s_add_co_i32 s31, s30, -8
.LBB0_882:                              ;   in Loop: Header=BB0_868 Depth=2
	s_delay_alu instid0(SALU_CYCLE_1)
	s_cmp_gt_u32 s31, 7
	s_cbranch_scc1 .LBB0_887
; %bb.883:                              ;   in Loop: Header=BB0_868 Depth=2
	v_mov_b64_e32 v[22:23], 0
	s_cmp_eq_u32 s31, 0
	s_cbranch_scc1 .LBB0_886
; %bb.884:                              ;   in Loop: Header=BB0_868 Depth=2
	s_wait_xcnt 0x0
	s_mov_b64 s[0:1], 0
	s_mov_b64 s[26:27], 0
.LBB0_885:                              ;   Parent Loop BB0_839 Depth=1
                                        ;     Parent Loop BB0_868 Depth=2
                                        ; =>    This Inner Loop Header: Depth=3
	s_wait_xcnt 0x0
	s_add_nc_u64 s[34:35], s[24:25], s[26:27]
	s_add_nc_u64 s[26:27], s[26:27], 1
	global_load_u8 v1, v3, s[34:35]
	s_cmp_lg_u32 s31, s26
	s_wait_loadcnt 0x0
	v_and_b32_e32 v2, 0xffff, v1
	s_delay_alu instid0(VALU_DEP_1) | instskip(SKIP_1) | instid1(VALU_DEP_1)
	v_lshlrev_b64_e32 v[24:25], s0, v[2:3]
	s_add_nc_u64 s[0:1], s[0:1], 8
	v_or_b32_e32 v22, v24, v22
	s_delay_alu instid0(VALU_DEP_2)
	v_or_b32_e32 v23, v25, v23
	s_cbranch_scc1 .LBB0_885
.LBB0_886:                              ;   in Loop: Header=BB0_868 Depth=2
	s_wait_xcnt 0x0
	s_mov_b64 s[0:1], s[24:25]
	s_mov_b32 s30, 0
	s_cbranch_execz .LBB0_888
	s_branch .LBB0_889
.LBB0_887:                              ;   in Loop: Header=BB0_868 Depth=2
	s_wait_xcnt 0x0
	s_add_nc_u64 s[0:1], s[24:25], 8
	s_mov_b32 s30, 0
.LBB0_888:                              ;   in Loop: Header=BB0_868 Depth=2
	global_load_b64 v[22:23], v3, s[24:25]
	s_add_co_i32 s30, s31, -8
.LBB0_889:                              ;   in Loop: Header=BB0_868 Depth=2
	s_delay_alu instid0(SALU_CYCLE_1)
	s_cmp_gt_u32 s30, 7
	s_cbranch_scc1 .LBB0_894
; %bb.890:                              ;   in Loop: Header=BB0_868 Depth=2
	v_mov_b64_e32 v[24:25], 0
	s_cmp_eq_u32 s30, 0
	s_cbranch_scc1 .LBB0_893
; %bb.891:                              ;   in Loop: Header=BB0_868 Depth=2
	s_wait_xcnt 0x0
	s_mov_b64 s[24:25], 0
	s_mov_b64 s[26:27], 0
.LBB0_892:                              ;   Parent Loop BB0_839 Depth=1
                                        ;     Parent Loop BB0_868 Depth=2
                                        ; =>    This Inner Loop Header: Depth=3
	s_wait_xcnt 0x0
	s_add_nc_u64 s[34:35], s[0:1], s[26:27]
	s_add_nc_u64 s[26:27], s[26:27], 1
	global_load_u8 v1, v3, s[34:35]
	s_cmp_lg_u32 s30, s26
	s_wait_loadcnt 0x0
	v_and_b32_e32 v2, 0xffff, v1
	s_delay_alu instid0(VALU_DEP_1) | instskip(SKIP_1) | instid1(VALU_DEP_1)
	v_lshlrev_b64_e32 v[26:27], s24, v[2:3]
	s_add_nc_u64 s[24:25], s[24:25], 8
	v_or_b32_e32 v24, v26, v24
	s_delay_alu instid0(VALU_DEP_2)
	v_or_b32_e32 v25, v27, v25
	s_cbranch_scc1 .LBB0_892
.LBB0_893:                              ;   in Loop: Header=BB0_868 Depth=2
	s_wait_xcnt 0x0
	s_mov_b64 s[24:25], s[0:1]
	s_mov_b32 s31, 0
	s_cbranch_execz .LBB0_895
	s_branch .LBB0_896
.LBB0_894:                              ;   in Loop: Header=BB0_868 Depth=2
	s_wait_xcnt 0x0
	s_add_nc_u64 s[24:25], s[0:1], 8
                                        ; implicit-def: $vgpr24_vgpr25
	s_mov_b32 s31, 0
.LBB0_895:                              ;   in Loop: Header=BB0_868 Depth=2
	global_load_b64 v[24:25], v3, s[0:1]
	s_add_co_i32 s31, s30, -8
.LBB0_896:                              ;   in Loop: Header=BB0_868 Depth=2
	s_delay_alu instid0(SALU_CYCLE_1)
	s_cmp_gt_u32 s31, 7
	s_cbranch_scc1 .LBB0_901
; %bb.897:                              ;   in Loop: Header=BB0_868 Depth=2
	v_mov_b64_e32 v[26:27], 0
	s_cmp_eq_u32 s31, 0
	s_cbranch_scc1 .LBB0_900
; %bb.898:                              ;   in Loop: Header=BB0_868 Depth=2
	s_wait_xcnt 0x0
	s_mov_b64 s[0:1], 0
	s_mov_b64 s[26:27], 0
.LBB0_899:                              ;   Parent Loop BB0_839 Depth=1
                                        ;     Parent Loop BB0_868 Depth=2
                                        ; =>    This Inner Loop Header: Depth=3
	s_wait_xcnt 0x0
	s_add_nc_u64 s[34:35], s[24:25], s[26:27]
	s_add_nc_u64 s[26:27], s[26:27], 1
	global_load_u8 v1, v3, s[34:35]
	s_cmp_lg_u32 s31, s26
	s_wait_loadcnt 0x0
	v_and_b32_e32 v2, 0xffff, v1
	s_delay_alu instid0(VALU_DEP_1) | instskip(SKIP_1) | instid1(VALU_DEP_1)
	v_lshlrev_b64_e32 v[28:29], s0, v[2:3]
	s_add_nc_u64 s[0:1], s[0:1], 8
	v_or_b32_e32 v26, v28, v26
	s_delay_alu instid0(VALU_DEP_2)
	v_or_b32_e32 v27, v29, v27
	s_cbranch_scc1 .LBB0_899
.LBB0_900:                              ;   in Loop: Header=BB0_868 Depth=2
	s_wait_xcnt 0x0
	s_mov_b64 s[0:1], s[24:25]
	s_mov_b32 s30, 0
	s_cbranch_execz .LBB0_902
	s_branch .LBB0_903
.LBB0_901:                              ;   in Loop: Header=BB0_868 Depth=2
	s_wait_xcnt 0x0
	s_add_nc_u64 s[0:1], s[24:25], 8
	s_mov_b32 s30, 0
.LBB0_902:                              ;   in Loop: Header=BB0_868 Depth=2
	global_load_b64 v[26:27], v3, s[24:25]
	s_add_co_i32 s30, s31, -8
.LBB0_903:                              ;   in Loop: Header=BB0_868 Depth=2
	s_delay_alu instid0(SALU_CYCLE_1)
	s_cmp_gt_u32 s30, 7
	s_cbranch_scc1 .LBB0_908
; %bb.904:                              ;   in Loop: Header=BB0_868 Depth=2
	v_mov_b64_e32 v[28:29], 0
	s_cmp_eq_u32 s30, 0
	s_cbranch_scc1 .LBB0_907
; %bb.905:                              ;   in Loop: Header=BB0_868 Depth=2
	s_wait_xcnt 0x0
	s_mov_b64 s[24:25], 0
	s_mov_b64 s[26:27], 0
.LBB0_906:                              ;   Parent Loop BB0_839 Depth=1
                                        ;     Parent Loop BB0_868 Depth=2
                                        ; =>    This Inner Loop Header: Depth=3
	s_wait_xcnt 0x0
	s_add_nc_u64 s[34:35], s[0:1], s[26:27]
	s_add_nc_u64 s[26:27], s[26:27], 1
	global_load_u8 v1, v3, s[34:35]
	s_cmp_lg_u32 s30, s26
	s_wait_loadcnt 0x0
	v_and_b32_e32 v2, 0xffff, v1
	s_delay_alu instid0(VALU_DEP_1) | instskip(SKIP_1) | instid1(VALU_DEP_1)
	v_lshlrev_b64_e32 v[30:31], s24, v[2:3]
	s_add_nc_u64 s[24:25], s[24:25], 8
	v_or_b32_e32 v28, v30, v28
	s_delay_alu instid0(VALU_DEP_2)
	v_or_b32_e32 v29, v31, v29
	s_cbranch_scc1 .LBB0_906
.LBB0_907:                              ;   in Loop: Header=BB0_868 Depth=2
	s_wait_xcnt 0x0
	s_mov_b64 s[24:25], s[0:1]
	s_mov_b32 s31, 0
	s_cbranch_execz .LBB0_909
	s_branch .LBB0_910
.LBB0_908:                              ;   in Loop: Header=BB0_868 Depth=2
	s_wait_xcnt 0x0
	s_add_nc_u64 s[24:25], s[0:1], 8
                                        ; implicit-def: $vgpr28_vgpr29
	s_mov_b32 s31, 0
.LBB0_909:                              ;   in Loop: Header=BB0_868 Depth=2
	global_load_b64 v[28:29], v3, s[0:1]
	s_add_co_i32 s31, s30, -8
.LBB0_910:                              ;   in Loop: Header=BB0_868 Depth=2
	s_delay_alu instid0(SALU_CYCLE_1)
	s_cmp_gt_u32 s31, 7
	s_cbranch_scc1 .LBB0_915
; %bb.911:                              ;   in Loop: Header=BB0_868 Depth=2
	v_mov_b64_e32 v[30:31], 0
	s_cmp_eq_u32 s31, 0
	s_cbranch_scc1 .LBB0_914
; %bb.912:                              ;   in Loop: Header=BB0_868 Depth=2
	s_wait_xcnt 0x0
	s_mov_b64 s[0:1], 0
	s_mov_b64 s[26:27], s[24:25]
.LBB0_913:                              ;   Parent Loop BB0_839 Depth=1
                                        ;     Parent Loop BB0_868 Depth=2
                                        ; =>    This Inner Loop Header: Depth=3
	global_load_u8 v1, v3, s[26:27]
	s_add_co_i32 s31, s31, -1
	s_wait_xcnt 0x0
	s_add_nc_u64 s[26:27], s[26:27], 1
	s_cmp_lg_u32 s31, 0
	s_wait_loadcnt 0x0
	v_and_b32_e32 v2, 0xffff, v1
	s_delay_alu instid0(VALU_DEP_1) | instskip(SKIP_1) | instid1(VALU_DEP_1)
	v_lshlrev_b64_e32 v[32:33], s0, v[2:3]
	s_add_nc_u64 s[0:1], s[0:1], 8
	v_or_b32_e32 v30, v32, v30
	s_delay_alu instid0(VALU_DEP_2)
	v_or_b32_e32 v31, v33, v31
	s_cbranch_scc1 .LBB0_913
.LBB0_914:                              ;   in Loop: Header=BB0_868 Depth=2
	s_wait_xcnt 0x0
	s_cbranch_execz .LBB0_916
	s_branch .LBB0_917
.LBB0_915:                              ;   in Loop: Header=BB0_868 Depth=2
	s_wait_xcnt 0x0
.LBB0_916:                              ;   in Loop: Header=BB0_868 Depth=2
	global_load_b64 v[30:31], v3, s[24:25]
.LBB0_917:                              ;   in Loop: Header=BB0_868 Depth=2
	v_readfirstlane_b32 s0, v46
	v_mov_b64_e32 v[40:41], 0
	s_delay_alu instid0(VALU_DEP_2)
	v_cmp_eq_u32_e64 s0, s0, v46
	s_wait_xcnt 0x0
	s_and_saveexec_b32 s1, s0
	s_cbranch_execz .LBB0_923
; %bb.918:                              ;   in Loop: Header=BB0_868 Depth=2
	global_load_b64 v[34:35], v3, s[16:17] offset:24 scope:SCOPE_SYS
	s_wait_loadcnt 0x0
	global_inv scope:SCOPE_SYS
	s_clause 0x1
	global_load_b64 v[32:33], v3, s[16:17] offset:40
	global_load_b64 v[40:41], v3, s[16:17]
	s_mov_b32 s24, exec_lo
	s_wait_loadcnt 0x1
	v_and_b32_e32 v32, v32, v34
	v_and_b32_e32 v33, v33, v35
	s_delay_alu instid0(VALU_DEP_1) | instskip(SKIP_1) | instid1(VALU_DEP_1)
	v_mul_u64_e32 v[32:33], 24, v[32:33]
	s_wait_loadcnt 0x0
	v_add_nc_u64_e32 v[32:33], v[40:41], v[32:33]
	global_load_b64 v[32:33], v[32:33], off scope:SCOPE_SYS
	s_wait_xcnt 0x0
	s_wait_loadcnt 0x0
	global_atomic_cmpswap_b64 v[40:41], v3, v[32:35], s[16:17] offset:24 th:TH_ATOMIC_RETURN scope:SCOPE_SYS
	s_wait_loadcnt 0x0
	global_inv scope:SCOPE_SYS
	s_wait_xcnt 0x0
	v_cmpx_ne_u64_e64 v[40:41], v[34:35]
	s_cbranch_execz .LBB0_922
; %bb.919:                              ;   in Loop: Header=BB0_868 Depth=2
	s_mov_b32 s25, 0
.LBB0_920:                              ;   Parent Loop BB0_839 Depth=1
                                        ;     Parent Loop BB0_868 Depth=2
                                        ; =>    This Inner Loop Header: Depth=3
	s_sleep 1
	s_clause 0x1
	global_load_b64 v[32:33], v3, s[16:17] offset:40
	global_load_b64 v[42:43], v3, s[16:17]
	v_mov_b64_e32 v[34:35], v[40:41]
	s_wait_loadcnt 0x1
	s_delay_alu instid0(VALU_DEP_1) | instskip(SKIP_1) | instid1(VALU_DEP_1)
	v_and_b32_e32 v1, v32, v34
	s_wait_loadcnt 0x0
	v_mad_nc_u64_u32 v[40:41], v1, 24, v[42:43]
	s_delay_alu instid0(VALU_DEP_3) | instskip(NEXT) | instid1(VALU_DEP_1)
	v_and_b32_e32 v1, v33, v35
	v_mad_u32 v41, v1, 24, v41
	global_load_b64 v[32:33], v[40:41], off scope:SCOPE_SYS
	s_wait_xcnt 0x0
	s_wait_loadcnt 0x0
	global_atomic_cmpswap_b64 v[40:41], v3, v[32:35], s[16:17] offset:24 th:TH_ATOMIC_RETURN scope:SCOPE_SYS
	s_wait_loadcnt 0x0
	global_inv scope:SCOPE_SYS
	v_cmp_eq_u64_e32 vcc_lo, v[40:41], v[34:35]
	s_or_b32 s25, vcc_lo, s25
	s_wait_xcnt 0x0
	s_and_not1_b32 exec_lo, exec_lo, s25
	s_cbranch_execnz .LBB0_920
; %bb.921:                              ;   in Loop: Header=BB0_868 Depth=2
	s_or_b32 exec_lo, exec_lo, s25
.LBB0_922:                              ;   in Loop: Header=BB0_868 Depth=2
	s_delay_alu instid0(SALU_CYCLE_1)
	s_or_b32 exec_lo, exec_lo, s24
.LBB0_923:                              ;   in Loop: Header=BB0_868 Depth=2
	s_delay_alu instid0(SALU_CYCLE_1)
	s_or_b32 exec_lo, exec_lo, s1
	s_clause 0x1
	global_load_b64 v[42:43], v3, s[16:17] offset:40
	global_load_b128 v[32:35], v3, s[16:17]
	v_readfirstlane_b32 s24, v40
	v_readfirstlane_b32 s25, v41
	s_mov_b32 s1, exec_lo
	s_wait_loadcnt 0x1
	v_and_b32_e32 v42, s24, v42
	v_and_b32_e32 v43, s25, v43
	s_delay_alu instid0(VALU_DEP_1) | instskip(SKIP_1) | instid1(VALU_DEP_1)
	v_mul_u64_e32 v[40:41], 24, v[42:43]
	s_wait_loadcnt 0x0
	v_add_nc_u64_e32 v[40:41], v[32:33], v[40:41]
	s_wait_xcnt 0x0
	s_and_saveexec_b32 s26, s0
	s_cbranch_execz .LBB0_925
; %bb.924:                              ;   in Loop: Header=BB0_868 Depth=2
	v_mov_b32_e32 v2, s1
	global_store_b128 v[40:41], v[2:5], off offset:8
.LBB0_925:                              ;   in Loop: Header=BB0_868 Depth=2
	s_wait_xcnt 0x0
	s_or_b32 exec_lo, exec_lo, s26
	v_cmp_lt_u64_e64 vcc_lo, s[8:9], 57
	v_lshlrev_b64_e32 v[42:43], 12, v[42:43]
	v_and_b32_e32 v2, 0xffffff1f, v14
	s_lshl_b32 s1, s14, 2
	s_delay_alu instid0(SALU_CYCLE_1) | instskip(SKIP_1) | instid1(VALU_DEP_3)
	s_add_co_i32 s1, s1, 28
	v_cndmask_b32_e32 v1, 0, v38, vcc_lo
	v_add_nc_u64_e32 v[34:35], v[34:35], v[42:43]
	s_delay_alu instid0(VALU_DEP_2) | instskip(NEXT) | instid1(VALU_DEP_2)
	v_or_b32_e32 v1, v2, v1
	v_readfirstlane_b32 s26, v34
	s_delay_alu instid0(VALU_DEP_3) | instskip(NEXT) | instid1(VALU_DEP_3)
	v_readfirstlane_b32 s27, v35
	v_and_or_b32 v14, 0x1e0, s1, v1
	s_clause 0x3
	global_store_b128 v0, v[14:17], s[26:27]
	global_store_b128 v0, v[20:23], s[26:27] offset:16
	global_store_b128 v0, v[24:27], s[26:27] offset:32
	;; [unrolled: 1-line block ×3, first 2 shown]
	s_wait_xcnt 0x0
	s_and_saveexec_b32 s1, s0
	s_cbranch_execz .LBB0_933
; %bb.926:                              ;   in Loop: Header=BB0_868 Depth=2
	s_clause 0x1
	global_load_b64 v[24:25], v3, s[16:17] offset:32 scope:SCOPE_SYS
	global_load_b64 v[14:15], v3, s[16:17] offset:40
	s_mov_b32 s26, exec_lo
	v_dual_mov_b32 v22, s24 :: v_dual_mov_b32 v23, s25
	s_wait_loadcnt 0x0
	v_and_b32_e32 v15, s25, v15
	v_and_b32_e32 v14, s24, v14
	s_delay_alu instid0(VALU_DEP_1) | instskip(NEXT) | instid1(VALU_DEP_1)
	v_mul_u64_e32 v[14:15], 24, v[14:15]
	v_add_nc_u64_e32 v[20:21], v[32:33], v[14:15]
	global_store_b64 v[20:21], v[24:25], off
	global_wb scope:SCOPE_SYS
	s_wait_storecnt 0x0
	s_wait_xcnt 0x0
	global_atomic_cmpswap_b64 v[16:17], v3, v[22:25], s[16:17] offset:32 th:TH_ATOMIC_RETURN scope:SCOPE_SYS
	s_wait_loadcnt 0x0
	v_cmpx_ne_u64_e64 v[16:17], v[24:25]
	s_cbranch_execz .LBB0_929
; %bb.927:                              ;   in Loop: Header=BB0_868 Depth=2
	s_mov_b32 s27, 0
.LBB0_928:                              ;   Parent Loop BB0_839 Depth=1
                                        ;     Parent Loop BB0_868 Depth=2
                                        ; =>    This Inner Loop Header: Depth=3
	v_dual_mov_b32 v14, s24 :: v_dual_mov_b32 v15, s25
	s_sleep 1
	global_store_b64 v[20:21], v[16:17], off
	global_wb scope:SCOPE_SYS
	s_wait_storecnt 0x0
	s_wait_xcnt 0x0
	global_atomic_cmpswap_b64 v[14:15], v3, v[14:17], s[16:17] offset:32 th:TH_ATOMIC_RETURN scope:SCOPE_SYS
	s_wait_loadcnt 0x0
	v_cmp_eq_u64_e32 vcc_lo, v[14:15], v[16:17]
	v_mov_b64_e32 v[16:17], v[14:15]
	s_or_b32 s27, vcc_lo, s27
	s_delay_alu instid0(SALU_CYCLE_1)
	s_and_not1_b32 exec_lo, exec_lo, s27
	s_cbranch_execnz .LBB0_928
.LBB0_929:                              ;   in Loop: Header=BB0_868 Depth=2
	s_or_b32 exec_lo, exec_lo, s26
	global_load_b64 v[14:15], v3, s[16:17] offset:16
	s_mov_b32 s27, exec_lo
	s_mov_b32 s26, exec_lo
	v_mbcnt_lo_u32_b32 v1, s27, 0
	s_wait_xcnt 0x0
	s_delay_alu instid0(VALU_DEP_1)
	v_cmpx_eq_u32_e32 0, v1
	s_cbranch_execz .LBB0_931
; %bb.930:                              ;   in Loop: Header=BB0_868 Depth=2
	s_bcnt1_i32_b32 s27, s27
	s_delay_alu instid0(SALU_CYCLE_1)
	v_mov_b32_e32 v2, s27
	global_wb scope:SCOPE_SYS
	s_wait_loadcnt 0x0
	s_wait_storecnt 0x0
	global_atomic_add_u64 v[14:15], v[2:3], off offset:8 scope:SCOPE_SYS
.LBB0_931:                              ;   in Loop: Header=BB0_868 Depth=2
	s_wait_xcnt 0x0
	s_or_b32 exec_lo, exec_lo, s26
	s_wait_loadcnt 0x0
	global_load_b64 v[16:17], v[14:15], off offset:16
	s_wait_loadcnt 0x0
	v_cmp_eq_u64_e32 vcc_lo, 0, v[16:17]
	s_cbranch_vccnz .LBB0_933
; %bb.932:                              ;   in Loop: Header=BB0_868 Depth=2
	global_load_b32 v2, v[14:15], off offset:24
	s_wait_loadcnt 0x0
	v_readfirstlane_b32 s26, v2
	global_wb scope:SCOPE_SYS
	s_wait_storecnt 0x0
	s_wait_xcnt 0x0
	global_store_b64 v[16:17], v[2:3], off scope:SCOPE_SYS
	s_and_b32 m0, s26, 0xffffff
	s_sendmsg sendmsg(MSG_INTERRUPT)
.LBB0_933:                              ;   in Loop: Header=BB0_868 Depth=2
	s_wait_xcnt 0x0
	s_or_b32 exec_lo, exec_lo, s1
	v_mov_b32_e32 v1, v3
	s_delay_alu instid0(VALU_DEP_1)
	v_add_nc_u64_e32 v[14:15], v[34:35], v[0:1]
	s_branch .LBB0_937
.LBB0_934:                              ;   in Loop: Header=BB0_937 Depth=3
	s_wait_xcnt 0x0
	s_or_b32 exec_lo, exec_lo, s1
	s_delay_alu instid0(VALU_DEP_1)
	v_readfirstlane_b32 s1, v1
	s_cmp_eq_u32 s1, 0
	s_cbranch_scc1 .LBB0_936
; %bb.935:                              ;   in Loop: Header=BB0_937 Depth=3
	s_sleep 1
	s_cbranch_execnz .LBB0_937
	s_branch .LBB0_939
.LBB0_936:                              ;   in Loop: Header=BB0_868 Depth=2
	s_branch .LBB0_939
.LBB0_937:                              ;   Parent Loop BB0_839 Depth=1
                                        ;     Parent Loop BB0_868 Depth=2
                                        ; =>    This Inner Loop Header: Depth=3
	v_mov_b32_e32 v1, 1
	s_and_saveexec_b32 s1, s0
	s_cbranch_execz .LBB0_934
; %bb.938:                              ;   in Loop: Header=BB0_937 Depth=3
	global_load_b32 v1, v[40:41], off offset:20 scope:SCOPE_SYS
	s_wait_loadcnt 0x0
	global_inv scope:SCOPE_SYS
	v_and_b32_e32 v1, 1, v1
	s_branch .LBB0_934
.LBB0_939:                              ;   in Loop: Header=BB0_868 Depth=2
	global_load_b64 v[14:15], v[14:15], off
	s_wait_xcnt 0x0
	s_and_saveexec_b32 s26, s0
	s_cbranch_execz .LBB0_867
; %bb.940:                              ;   in Loop: Header=BB0_868 Depth=2
	s_clause 0x2
	global_load_b64 v[16:17], v3, s[16:17] offset:40
	global_load_b64 v[24:25], v3, s[16:17] offset:24 scope:SCOPE_SYS
	global_load_b64 v[20:21], v3, s[16:17]
	s_wait_loadcnt 0x2
	v_readfirstlane_b32 s30, v16
	v_readfirstlane_b32 s31, v17
	s_add_nc_u64 s[0:1], s[30:31], 1
	s_delay_alu instid0(SALU_CYCLE_1) | instskip(NEXT) | instid1(SALU_CYCLE_1)
	s_add_nc_u64 s[24:25], s[0:1], s[24:25]
	s_cmp_eq_u64 s[24:25], 0
	s_cselect_b32 s1, s1, s25
	s_cselect_b32 s0, s0, s24
	s_delay_alu instid0(SALU_CYCLE_1) | instskip(SKIP_1) | instid1(SALU_CYCLE_1)
	v_dual_mov_b32 v23, s1 :: v_dual_mov_b32 v22, s0
	s_and_b64 s[24:25], s[0:1], s[30:31]
	s_mul_u64 s[24:25], s[24:25], 24
	s_wait_loadcnt 0x0
	v_add_nc_u64_e32 v[16:17], s[24:25], v[20:21]
	global_store_b64 v[16:17], v[24:25], off
	global_wb scope:SCOPE_SYS
	s_wait_storecnt 0x0
	s_wait_xcnt 0x0
	global_atomic_cmpswap_b64 v[22:23], v3, v[22:25], s[16:17] offset:24 th:TH_ATOMIC_RETURN scope:SCOPE_SYS
	s_wait_loadcnt 0x0
	v_cmp_ne_u64_e32 vcc_lo, v[22:23], v[24:25]
	s_and_b32 exec_lo, exec_lo, vcc_lo
	s_cbranch_execz .LBB0_867
; %bb.941:                              ;   in Loop: Header=BB0_868 Depth=2
	s_mov_b32 s24, 0
.LBB0_942:                              ;   Parent Loop BB0_839 Depth=1
                                        ;     Parent Loop BB0_868 Depth=2
                                        ; =>    This Inner Loop Header: Depth=3
	v_dual_mov_b32 v20, s0 :: v_dual_mov_b32 v21, s1
	s_sleep 1
	global_store_b64 v[16:17], v[22:23], off
	global_wb scope:SCOPE_SYS
	s_wait_storecnt 0x0
	s_wait_xcnt 0x0
	global_atomic_cmpswap_b64 v[20:21], v3, v[20:23], s[16:17] offset:24 th:TH_ATOMIC_RETURN scope:SCOPE_SYS
	s_wait_loadcnt 0x0
	v_cmp_eq_u64_e32 vcc_lo, v[20:21], v[22:23]
	v_mov_b64_e32 v[22:23], v[20:21]
	s_or_b32 s24, vcc_lo, s24
	s_delay_alu instid0(SALU_CYCLE_1)
	s_and_not1_b32 exec_lo, exec_lo, s24
	s_cbranch_execnz .LBB0_942
	s_branch .LBB0_867
.LBB0_943:                              ;   in Loop: Header=BB0_839 Depth=1
	s_branch .LBB0_972
.LBB0_944:                              ;   in Loop: Header=BB0_839 Depth=1
                                        ; implicit-def: $vgpr14_vgpr15
	s_cbranch_execz .LBB0_972
; %bb.945:                              ;   in Loop: Header=BB0_839 Depth=1
	v_readfirstlane_b32 s0, v46
	v_mov_b64_e32 v[20:21], 0
	s_delay_alu instid0(VALU_DEP_2)
	v_cmp_eq_u32_e64 s0, s0, v46
	s_and_saveexec_b32 s1, s0
	s_cbranch_execz .LBB0_951
; %bb.946:                              ;   in Loop: Header=BB0_839 Depth=1
	global_load_b64 v[16:17], v3, s[16:17] offset:24 scope:SCOPE_SYS
	s_wait_loadcnt 0x0
	global_inv scope:SCOPE_SYS
	s_clause 0x1
	global_load_b64 v[14:15], v3, s[16:17] offset:40
	global_load_b64 v[20:21], v3, s[16:17]
	s_mov_b32 s8, exec_lo
	s_wait_loadcnt 0x1
	v_and_b32_e32 v14, v14, v16
	v_and_b32_e32 v15, v15, v17
	s_delay_alu instid0(VALU_DEP_1) | instskip(SKIP_1) | instid1(VALU_DEP_1)
	v_mul_u64_e32 v[14:15], 24, v[14:15]
	s_wait_loadcnt 0x0
	v_add_nc_u64_e32 v[14:15], v[20:21], v[14:15]
	global_load_b64 v[14:15], v[14:15], off scope:SCOPE_SYS
	s_wait_xcnt 0x0
	s_wait_loadcnt 0x0
	global_atomic_cmpswap_b64 v[20:21], v3, v[14:17], s[16:17] offset:24 th:TH_ATOMIC_RETURN scope:SCOPE_SYS
	s_wait_loadcnt 0x0
	global_inv scope:SCOPE_SYS
	s_wait_xcnt 0x0
	v_cmpx_ne_u64_e64 v[20:21], v[16:17]
	s_cbranch_execz .LBB0_950
; %bb.947:                              ;   in Loop: Header=BB0_839 Depth=1
	s_mov_b32 s9, 0
.LBB0_948:                              ;   Parent Loop BB0_839 Depth=1
                                        ; =>  This Inner Loop Header: Depth=2
	s_sleep 1
	s_clause 0x1
	global_load_b64 v[14:15], v3, s[16:17] offset:40
	global_load_b64 v[22:23], v3, s[16:17]
	v_mov_b64_e32 v[16:17], v[20:21]
	s_wait_loadcnt 0x1
	s_delay_alu instid0(VALU_DEP_1) | instskip(SKIP_1) | instid1(VALU_DEP_1)
	v_and_b32_e32 v1, v14, v16
	s_wait_loadcnt 0x0
	v_mad_nc_u64_u32 v[20:21], v1, 24, v[22:23]
	s_delay_alu instid0(VALU_DEP_3) | instskip(NEXT) | instid1(VALU_DEP_1)
	v_and_b32_e32 v1, v15, v17
	v_mad_u32 v21, v1, 24, v21
	global_load_b64 v[14:15], v[20:21], off scope:SCOPE_SYS
	s_wait_xcnt 0x0
	s_wait_loadcnt 0x0
	global_atomic_cmpswap_b64 v[20:21], v3, v[14:17], s[16:17] offset:24 th:TH_ATOMIC_RETURN scope:SCOPE_SYS
	s_wait_loadcnt 0x0
	global_inv scope:SCOPE_SYS
	v_cmp_eq_u64_e32 vcc_lo, v[20:21], v[16:17]
	s_or_b32 s9, vcc_lo, s9
	s_wait_xcnt 0x0
	s_and_not1_b32 exec_lo, exec_lo, s9
	s_cbranch_execnz .LBB0_948
; %bb.949:                              ;   in Loop: Header=BB0_839 Depth=1
	s_or_b32 exec_lo, exec_lo, s9
.LBB0_950:                              ;   in Loop: Header=BB0_839 Depth=1
	s_delay_alu instid0(SALU_CYCLE_1)
	s_or_b32 exec_lo, exec_lo, s8
.LBB0_951:                              ;   in Loop: Header=BB0_839 Depth=1
	s_delay_alu instid0(SALU_CYCLE_1)
	s_or_b32 exec_lo, exec_lo, s1
	global_load_b64 v[22:23], v3, s[16:17] offset:40
	s_wait_loadcnt 0x1
	global_load_b128 v[14:17], v3, s[16:17]
	v_readfirstlane_b32 s8, v20
	v_readfirstlane_b32 s9, v21
	s_mov_b32 s1, exec_lo
	s_wait_loadcnt 0x1
	v_and_b32_e32 v20, s8, v22
	v_and_b32_e32 v21, s9, v23
	s_delay_alu instid0(VALU_DEP_1) | instskip(SKIP_1) | instid1(VALU_DEP_1)
	v_mul_u64_e32 v[22:23], 24, v[20:21]
	s_wait_loadcnt 0x0
	v_add_nc_u64_e32 v[22:23], v[14:15], v[22:23]
	s_wait_xcnt 0x0
	s_and_saveexec_b32 s10, s0
	s_cbranch_execz .LBB0_953
; %bb.952:                              ;   in Loop: Header=BB0_839 Depth=1
	v_mov_b32_e32 v2, s1
	global_store_b128 v[22:23], v[2:5], off offset:8
.LBB0_953:                              ;   in Loop: Header=BB0_839 Depth=1
	s_wait_xcnt 0x0
	s_or_b32 exec_lo, exec_lo, s10
	v_lshlrev_b64_e32 v[20:21], 12, v[20:21]
	v_mov_b64_e32 v[28:29], s[6:7]
	v_mov_b64_e32 v[26:27], s[4:5]
	v_and_or_b32 v18, 0xffffff1f, v18, 32
	s_delay_alu instid0(VALU_DEP_4) | instskip(SKIP_1) | instid1(VALU_DEP_2)
	v_add_nc_u64_e32 v[24:25], v[16:17], v[20:21]
	v_dual_mov_b32 v20, v3 :: v_dual_mov_b32 v21, v3
	v_readfirstlane_b32 s10, v24
	s_delay_alu instid0(VALU_DEP_3)
	v_readfirstlane_b32 s11, v25
	s_clause 0x3
	global_store_b128 v0, v[18:21], s[10:11]
	global_store_b128 v0, v[26:29], s[10:11] offset:16
	global_store_b128 v0, v[26:29], s[10:11] offset:32
	;; [unrolled: 1-line block ×3, first 2 shown]
	s_wait_xcnt 0x0
	s_and_saveexec_b32 s1, s0
	s_cbranch_execz .LBB0_961
; %bb.954:                              ;   in Loop: Header=BB0_839 Depth=1
	s_clause 0x1
	global_load_b64 v[28:29], v3, s[16:17] offset:32 scope:SCOPE_SYS
	global_load_b64 v[16:17], v3, s[16:17] offset:40
	s_mov_b32 s10, exec_lo
	v_dual_mov_b32 v26, s8 :: v_dual_mov_b32 v27, s9
	s_wait_loadcnt 0x0
	v_and_b32_e32 v17, s9, v17
	v_and_b32_e32 v16, s8, v16
	s_delay_alu instid0(VALU_DEP_1) | instskip(NEXT) | instid1(VALU_DEP_1)
	v_mul_u64_e32 v[16:17], 24, v[16:17]
	v_add_nc_u64_e32 v[18:19], v[14:15], v[16:17]
	global_store_b64 v[18:19], v[28:29], off
	global_wb scope:SCOPE_SYS
	s_wait_storecnt 0x0
	s_wait_xcnt 0x0
	global_atomic_cmpswap_b64 v[16:17], v3, v[26:29], s[16:17] offset:32 th:TH_ATOMIC_RETURN scope:SCOPE_SYS
	s_wait_loadcnt 0x0
	v_cmpx_ne_u64_e64 v[16:17], v[28:29]
	s_cbranch_execz .LBB0_957
; %bb.955:                              ;   in Loop: Header=BB0_839 Depth=1
	s_mov_b32 s11, 0
.LBB0_956:                              ;   Parent Loop BB0_839 Depth=1
                                        ; =>  This Inner Loop Header: Depth=2
	v_dual_mov_b32 v14, s8 :: v_dual_mov_b32 v15, s9
	s_sleep 1
	global_store_b64 v[18:19], v[16:17], off
	global_wb scope:SCOPE_SYS
	s_wait_storecnt 0x0
	s_wait_xcnt 0x0
	global_atomic_cmpswap_b64 v[14:15], v3, v[14:17], s[16:17] offset:32 th:TH_ATOMIC_RETURN scope:SCOPE_SYS
	s_wait_loadcnt 0x0
	v_cmp_eq_u64_e32 vcc_lo, v[14:15], v[16:17]
	v_mov_b64_e32 v[16:17], v[14:15]
	s_or_b32 s11, vcc_lo, s11
	s_delay_alu instid0(SALU_CYCLE_1)
	s_and_not1_b32 exec_lo, exec_lo, s11
	s_cbranch_execnz .LBB0_956
.LBB0_957:                              ;   in Loop: Header=BB0_839 Depth=1
	s_or_b32 exec_lo, exec_lo, s10
	global_load_b64 v[14:15], v3, s[16:17] offset:16
	s_mov_b32 s11, exec_lo
	s_mov_b32 s10, exec_lo
	v_mbcnt_lo_u32_b32 v1, s11, 0
	s_wait_xcnt 0x0
	s_delay_alu instid0(VALU_DEP_1)
	v_cmpx_eq_u32_e32 0, v1
	s_cbranch_execz .LBB0_959
; %bb.958:                              ;   in Loop: Header=BB0_839 Depth=1
	s_bcnt1_i32_b32 s11, s11
	s_delay_alu instid0(SALU_CYCLE_1)
	v_mov_b32_e32 v2, s11
	global_wb scope:SCOPE_SYS
	s_wait_loadcnt 0x0
	s_wait_storecnt 0x0
	global_atomic_add_u64 v[14:15], v[2:3], off offset:8 scope:SCOPE_SYS
.LBB0_959:                              ;   in Loop: Header=BB0_839 Depth=1
	s_wait_xcnt 0x0
	s_or_b32 exec_lo, exec_lo, s10
	s_wait_loadcnt 0x0
	global_load_b64 v[16:17], v[14:15], off offset:16
	s_wait_loadcnt 0x0
	v_cmp_eq_u64_e32 vcc_lo, 0, v[16:17]
	s_cbranch_vccnz .LBB0_961
; %bb.960:                              ;   in Loop: Header=BB0_839 Depth=1
	global_load_b32 v2, v[14:15], off offset:24
	s_wait_loadcnt 0x0
	v_readfirstlane_b32 s10, v2
	global_wb scope:SCOPE_SYS
	s_wait_storecnt 0x0
	s_wait_xcnt 0x0
	global_store_b64 v[16:17], v[2:3], off scope:SCOPE_SYS
	s_and_b32 m0, s10, 0xffffff
	s_sendmsg sendmsg(MSG_INTERRUPT)
.LBB0_961:                              ;   in Loop: Header=BB0_839 Depth=1
	s_wait_xcnt 0x0
	s_or_b32 exec_lo, exec_lo, s1
	v_mov_b32_e32 v1, v3
	s_delay_alu instid0(VALU_DEP_1)
	v_add_nc_u64_e32 v[14:15], v[24:25], v[0:1]
	s_branch .LBB0_965
.LBB0_962:                              ;   in Loop: Header=BB0_965 Depth=2
	s_wait_xcnt 0x0
	s_or_b32 exec_lo, exec_lo, s1
	s_delay_alu instid0(VALU_DEP_1)
	v_readfirstlane_b32 s1, v1
	s_cmp_eq_u32 s1, 0
	s_cbranch_scc1 .LBB0_964
; %bb.963:                              ;   in Loop: Header=BB0_965 Depth=2
	s_sleep 1
	s_cbranch_execnz .LBB0_965
	s_branch .LBB0_967
.LBB0_964:                              ;   in Loop: Header=BB0_839 Depth=1
	s_branch .LBB0_967
.LBB0_965:                              ;   Parent Loop BB0_839 Depth=1
                                        ; =>  This Inner Loop Header: Depth=2
	v_mov_b32_e32 v1, 1
	s_and_saveexec_b32 s1, s0
	s_cbranch_execz .LBB0_962
; %bb.966:                              ;   in Loop: Header=BB0_965 Depth=2
	global_load_b32 v1, v[22:23], off offset:20 scope:SCOPE_SYS
	s_wait_loadcnt 0x0
	global_inv scope:SCOPE_SYS
	v_and_b32_e32 v1, 1, v1
	s_branch .LBB0_962
.LBB0_967:                              ;   in Loop: Header=BB0_839 Depth=1
	global_load_b64 v[14:15], v[14:15], off
	s_wait_xcnt 0x0
	s_and_saveexec_b32 s10, s0
	s_cbranch_execz .LBB0_971
; %bb.968:                              ;   in Loop: Header=BB0_839 Depth=1
	s_clause 0x2
	global_load_b64 v[16:17], v3, s[16:17] offset:40
	global_load_b64 v[24:25], v3, s[16:17] offset:24 scope:SCOPE_SYS
	global_load_b64 v[18:19], v3, s[16:17]
	s_wait_loadcnt 0x2
	v_readfirstlane_b32 s14, v16
	v_readfirstlane_b32 s15, v17
	s_add_nc_u64 s[0:1], s[14:15], 1
	s_delay_alu instid0(SALU_CYCLE_1) | instskip(NEXT) | instid1(SALU_CYCLE_1)
	s_add_nc_u64 s[8:9], s[0:1], s[8:9]
	s_cmp_eq_u64 s[8:9], 0
	s_cselect_b32 s1, s1, s9
	s_cselect_b32 s0, s0, s8
	s_delay_alu instid0(SALU_CYCLE_1) | instskip(SKIP_1) | instid1(SALU_CYCLE_1)
	v_dual_mov_b32 v23, s1 :: v_dual_mov_b32 v22, s0
	s_and_b64 s[8:9], s[0:1], s[14:15]
	s_mul_u64 s[8:9], s[8:9], 24
	s_wait_loadcnt 0x0
	v_add_nc_u64_e32 v[20:21], s[8:9], v[18:19]
	global_store_b64 v[20:21], v[24:25], off
	global_wb scope:SCOPE_SYS
	s_wait_storecnt 0x0
	s_wait_xcnt 0x0
	global_atomic_cmpswap_b64 v[18:19], v3, v[22:25], s[16:17] offset:24 th:TH_ATOMIC_RETURN scope:SCOPE_SYS
	s_wait_loadcnt 0x0
	v_cmp_ne_u64_e32 vcc_lo, v[18:19], v[24:25]
	s_and_b32 exec_lo, exec_lo, vcc_lo
	s_cbranch_execz .LBB0_971
; %bb.969:                              ;   in Loop: Header=BB0_839 Depth=1
	s_mov_b32 s8, 0
.LBB0_970:                              ;   Parent Loop BB0_839 Depth=1
                                        ; =>  This Inner Loop Header: Depth=2
	v_dual_mov_b32 v16, s0 :: v_dual_mov_b32 v17, s1
	s_sleep 1
	global_store_b64 v[20:21], v[18:19], off
	global_wb scope:SCOPE_SYS
	s_wait_storecnt 0x0
	s_wait_xcnt 0x0
	global_atomic_cmpswap_b64 v[16:17], v3, v[16:19], s[16:17] offset:24 th:TH_ATOMIC_RETURN scope:SCOPE_SYS
	s_wait_loadcnt 0x0
	v_cmp_eq_u64_e32 vcc_lo, v[16:17], v[18:19]
	v_mov_b64_e32 v[18:19], v[16:17]
	s_or_b32 s8, vcc_lo, s8
	s_delay_alu instid0(SALU_CYCLE_1)
	s_and_not1_b32 exec_lo, exec_lo, s8
	s_cbranch_execnz .LBB0_970
.LBB0_971:                              ;   in Loop: Header=BB0_839 Depth=1
	s_or_b32 exec_lo, exec_lo, s10
.LBB0_972:                              ;   in Loop: Header=BB0_839 Depth=1
	s_bitcmp0_b32 s29, 0
	s_mov_b64 s[10:11], 0
	s_cselect_b32 s9, s23, s21
	s_cselect_b32 s8, s22, s20
	s_delay_alu instid0(SALU_CYCLE_1)
	s_cmp_lg_u64 s[8:9], 0
	s_cselect_b32 s14, -1, 0
	s_cmp_eq_u64 s[8:9], 0
	s_cbranch_scc1 .LBB0_976
; %bb.973:                              ;   in Loop: Header=BB0_839 Depth=1
	s_add_nc_u64 s[0:1], s[8:9], -1
.LBB0_974:                              ;   Parent Loop BB0_839 Depth=1
                                        ; =>  This Inner Loop Header: Depth=2
	s_load_u8 s10, s[0:1], 0x1
	s_wait_xcnt 0x0
	s_add_nc_u64 s[0:1], s[0:1], 1
	s_wait_kmcnt 0x0
	s_cmp_lg_u32 s10, 0
	s_cbranch_scc1 .LBB0_974
; %bb.975:                              ;   in Loop: Header=BB0_839 Depth=1
	s_sub_nc_u64 s[0:1], s[0:1], s[8:9]
	s_delay_alu instid0(SALU_CYCLE_1)
	s_add_nc_u64 s[10:11], s[0:1], 1
.LBB0_976:                              ;   in Loop: Header=BB0_839 Depth=1
	s_and_b32 vcc_lo, exec_lo, s14
	s_cbranch_vccz .LBB0_1055
; %bb.977:                              ;   in Loop: Header=BB0_839 Depth=1
	s_wait_loadcnt 0x0
	v_dual_mov_b32 v17, v15 :: v_dual_bitop2_b32 v38, 2, v14 bitop3:0x40
	v_and_b32_e32 v16, -3, v14
	s_branch .LBB0_979
.LBB0_978:                              ;   in Loop: Header=BB0_979 Depth=2
	s_or_b32 exec_lo, exec_lo, s26
	s_sub_nc_u64 s[10:11], s[10:11], s[14:15]
	s_add_nc_u64 s[8:9], s[8:9], s[14:15]
	s_cmp_lg_u64 s[10:11], 0
	s_cbranch_scc0 .LBB0_1054
.LBB0_979:                              ;   Parent Loop BB0_839 Depth=1
                                        ; =>  This Loop Header: Depth=2
                                        ;       Child Loop BB0_982 Depth 3
                                        ;       Child Loop BB0_989 Depth 3
	;; [unrolled: 1-line block ×11, first 2 shown]
	v_min_u64 v[18:19], s[10:11], 56
	v_cmp_gt_u64_e64 s0, s[10:11], 7
	s_and_b32 vcc_lo, exec_lo, s0
	v_readfirstlane_b32 s14, v18
	v_readfirstlane_b32 s15, v19
	s_cbranch_vccnz .LBB0_984
; %bb.980:                              ;   in Loop: Header=BB0_979 Depth=2
	v_mov_b64_e32 v[18:19], 0
	s_cmp_eq_u64 s[10:11], 0
	s_cbranch_scc1 .LBB0_983
; %bb.981:                              ;   in Loop: Header=BB0_979 Depth=2
	s_mov_b64 s[0:1], 0
	s_mov_b64 s[24:25], 0
.LBB0_982:                              ;   Parent Loop BB0_839 Depth=1
                                        ;     Parent Loop BB0_979 Depth=2
                                        ; =>    This Inner Loop Header: Depth=3
	s_wait_xcnt 0x0
	s_add_nc_u64 s[26:27], s[8:9], s[24:25]
	s_add_nc_u64 s[24:25], s[24:25], 1
	global_load_u8 v1, v3, s[26:27]
	s_cmp_lg_u32 s14, s24
	s_wait_loadcnt 0x0
	v_and_b32_e32 v2, 0xffff, v1
	s_delay_alu instid0(VALU_DEP_1) | instskip(SKIP_1) | instid1(VALU_DEP_1)
	v_lshlrev_b64_e32 v[20:21], s0, v[2:3]
	s_add_nc_u64 s[0:1], s[0:1], 8
	v_or_b32_e32 v18, v20, v18
	s_delay_alu instid0(VALU_DEP_2)
	v_or_b32_e32 v19, v21, v19
	s_cbranch_scc1 .LBB0_982
.LBB0_983:                              ;   in Loop: Header=BB0_979 Depth=2
	s_mov_b64 s[0:1], s[8:9]
	s_mov_b32 s30, 0
	s_cbranch_execz .LBB0_985
	s_branch .LBB0_986
.LBB0_984:                              ;   in Loop: Header=BB0_979 Depth=2
	s_add_nc_u64 s[0:1], s[8:9], 8
	s_mov_b32 s30, 0
.LBB0_985:                              ;   in Loop: Header=BB0_979 Depth=2
	global_load_b64 v[18:19], v3, s[8:9]
	s_add_co_i32 s30, s14, -8
.LBB0_986:                              ;   in Loop: Header=BB0_979 Depth=2
	s_delay_alu instid0(SALU_CYCLE_1)
	s_cmp_gt_u32 s30, 7
	s_cbranch_scc1 .LBB0_991
; %bb.987:                              ;   in Loop: Header=BB0_979 Depth=2
	v_mov_b64_e32 v[20:21], 0
	s_cmp_eq_u32 s30, 0
	s_cbranch_scc1 .LBB0_990
; %bb.988:                              ;   in Loop: Header=BB0_979 Depth=2
	s_mov_b64 s[24:25], 0
	s_wait_xcnt 0x0
	s_mov_b64 s[26:27], 0
.LBB0_989:                              ;   Parent Loop BB0_839 Depth=1
                                        ;     Parent Loop BB0_979 Depth=2
                                        ; =>    This Inner Loop Header: Depth=3
	s_wait_xcnt 0x0
	s_add_nc_u64 s[34:35], s[0:1], s[26:27]
	s_add_nc_u64 s[26:27], s[26:27], 1
	global_load_u8 v1, v3, s[34:35]
	s_cmp_lg_u32 s30, s26
	s_wait_loadcnt 0x0
	v_and_b32_e32 v2, 0xffff, v1
	s_delay_alu instid0(VALU_DEP_1) | instskip(SKIP_1) | instid1(VALU_DEP_1)
	v_lshlrev_b64_e32 v[22:23], s24, v[2:3]
	s_add_nc_u64 s[24:25], s[24:25], 8
	v_or_b32_e32 v20, v22, v20
	s_delay_alu instid0(VALU_DEP_2)
	v_or_b32_e32 v21, v23, v21
	s_cbranch_scc1 .LBB0_989
.LBB0_990:                              ;   in Loop: Header=BB0_979 Depth=2
	s_wait_xcnt 0x0
	s_mov_b64 s[24:25], s[0:1]
	s_mov_b32 s31, 0
	s_cbranch_execz .LBB0_992
	s_branch .LBB0_993
.LBB0_991:                              ;   in Loop: Header=BB0_979 Depth=2
	s_add_nc_u64 s[24:25], s[0:1], 8
	s_wait_xcnt 0x0
                                        ; implicit-def: $vgpr20_vgpr21
	s_mov_b32 s31, 0
.LBB0_992:                              ;   in Loop: Header=BB0_979 Depth=2
	global_load_b64 v[20:21], v3, s[0:1]
	s_add_co_i32 s31, s30, -8
.LBB0_993:                              ;   in Loop: Header=BB0_979 Depth=2
	s_delay_alu instid0(SALU_CYCLE_1)
	s_cmp_gt_u32 s31, 7
	s_cbranch_scc1 .LBB0_998
; %bb.994:                              ;   in Loop: Header=BB0_979 Depth=2
	v_mov_b64_e32 v[22:23], 0
	s_cmp_eq_u32 s31, 0
	s_cbranch_scc1 .LBB0_997
; %bb.995:                              ;   in Loop: Header=BB0_979 Depth=2
	s_wait_xcnt 0x0
	s_mov_b64 s[0:1], 0
	s_mov_b64 s[26:27], 0
.LBB0_996:                              ;   Parent Loop BB0_839 Depth=1
                                        ;     Parent Loop BB0_979 Depth=2
                                        ; =>    This Inner Loop Header: Depth=3
	s_wait_xcnt 0x0
	s_add_nc_u64 s[34:35], s[24:25], s[26:27]
	s_add_nc_u64 s[26:27], s[26:27], 1
	global_load_u8 v1, v3, s[34:35]
	s_cmp_lg_u32 s31, s26
	s_wait_loadcnt 0x0
	v_and_b32_e32 v2, 0xffff, v1
	s_delay_alu instid0(VALU_DEP_1) | instskip(SKIP_1) | instid1(VALU_DEP_1)
	v_lshlrev_b64_e32 v[24:25], s0, v[2:3]
	s_add_nc_u64 s[0:1], s[0:1], 8
	v_or_b32_e32 v22, v24, v22
	s_delay_alu instid0(VALU_DEP_2)
	v_or_b32_e32 v23, v25, v23
	s_cbranch_scc1 .LBB0_996
.LBB0_997:                              ;   in Loop: Header=BB0_979 Depth=2
	s_wait_xcnt 0x0
	s_mov_b64 s[0:1], s[24:25]
	s_mov_b32 s30, 0
	s_cbranch_execz .LBB0_999
	s_branch .LBB0_1000
.LBB0_998:                              ;   in Loop: Header=BB0_979 Depth=2
	s_wait_xcnt 0x0
	s_add_nc_u64 s[0:1], s[24:25], 8
	s_mov_b32 s30, 0
.LBB0_999:                              ;   in Loop: Header=BB0_979 Depth=2
	global_load_b64 v[22:23], v3, s[24:25]
	s_add_co_i32 s30, s31, -8
.LBB0_1000:                             ;   in Loop: Header=BB0_979 Depth=2
	s_delay_alu instid0(SALU_CYCLE_1)
	s_cmp_gt_u32 s30, 7
	s_cbranch_scc1 .LBB0_1005
; %bb.1001:                             ;   in Loop: Header=BB0_979 Depth=2
	v_mov_b64_e32 v[24:25], 0
	s_cmp_eq_u32 s30, 0
	s_cbranch_scc1 .LBB0_1004
; %bb.1002:                             ;   in Loop: Header=BB0_979 Depth=2
	s_wait_xcnt 0x0
	s_mov_b64 s[24:25], 0
	s_mov_b64 s[26:27], 0
.LBB0_1003:                             ;   Parent Loop BB0_839 Depth=1
                                        ;     Parent Loop BB0_979 Depth=2
                                        ; =>    This Inner Loop Header: Depth=3
	s_wait_xcnt 0x0
	s_add_nc_u64 s[34:35], s[0:1], s[26:27]
	s_add_nc_u64 s[26:27], s[26:27], 1
	global_load_u8 v1, v3, s[34:35]
	s_cmp_lg_u32 s30, s26
	s_wait_loadcnt 0x0
	v_and_b32_e32 v2, 0xffff, v1
	s_delay_alu instid0(VALU_DEP_1) | instskip(SKIP_1) | instid1(VALU_DEP_1)
	v_lshlrev_b64_e32 v[26:27], s24, v[2:3]
	s_add_nc_u64 s[24:25], s[24:25], 8
	v_or_b32_e32 v24, v26, v24
	s_delay_alu instid0(VALU_DEP_2)
	v_or_b32_e32 v25, v27, v25
	s_cbranch_scc1 .LBB0_1003
.LBB0_1004:                             ;   in Loop: Header=BB0_979 Depth=2
	s_wait_xcnt 0x0
	s_mov_b64 s[24:25], s[0:1]
	s_mov_b32 s31, 0
	s_cbranch_execz .LBB0_1006
	s_branch .LBB0_1007
.LBB0_1005:                             ;   in Loop: Header=BB0_979 Depth=2
	s_wait_xcnt 0x0
	s_add_nc_u64 s[24:25], s[0:1], 8
                                        ; implicit-def: $vgpr24_vgpr25
	s_mov_b32 s31, 0
.LBB0_1006:                             ;   in Loop: Header=BB0_979 Depth=2
	global_load_b64 v[24:25], v3, s[0:1]
	s_add_co_i32 s31, s30, -8
.LBB0_1007:                             ;   in Loop: Header=BB0_979 Depth=2
	s_delay_alu instid0(SALU_CYCLE_1)
	s_cmp_gt_u32 s31, 7
	s_cbranch_scc1 .LBB0_1012
; %bb.1008:                             ;   in Loop: Header=BB0_979 Depth=2
	v_mov_b64_e32 v[26:27], 0
	s_cmp_eq_u32 s31, 0
	s_cbranch_scc1 .LBB0_1011
; %bb.1009:                             ;   in Loop: Header=BB0_979 Depth=2
	s_wait_xcnt 0x0
	s_mov_b64 s[0:1], 0
	s_mov_b64 s[26:27], 0
.LBB0_1010:                             ;   Parent Loop BB0_839 Depth=1
                                        ;     Parent Loop BB0_979 Depth=2
                                        ; =>    This Inner Loop Header: Depth=3
	s_wait_xcnt 0x0
	s_add_nc_u64 s[34:35], s[24:25], s[26:27]
	s_add_nc_u64 s[26:27], s[26:27], 1
	global_load_u8 v1, v3, s[34:35]
	s_cmp_lg_u32 s31, s26
	s_wait_loadcnt 0x0
	v_and_b32_e32 v2, 0xffff, v1
	s_delay_alu instid0(VALU_DEP_1) | instskip(SKIP_1) | instid1(VALU_DEP_1)
	v_lshlrev_b64_e32 v[28:29], s0, v[2:3]
	s_add_nc_u64 s[0:1], s[0:1], 8
	v_or_b32_e32 v26, v28, v26
	s_delay_alu instid0(VALU_DEP_2)
	v_or_b32_e32 v27, v29, v27
	s_cbranch_scc1 .LBB0_1010
.LBB0_1011:                             ;   in Loop: Header=BB0_979 Depth=2
	s_wait_xcnt 0x0
	s_mov_b64 s[0:1], s[24:25]
	s_mov_b32 s30, 0
	s_cbranch_execz .LBB0_1013
	s_branch .LBB0_1014
.LBB0_1012:                             ;   in Loop: Header=BB0_979 Depth=2
	s_wait_xcnt 0x0
	s_add_nc_u64 s[0:1], s[24:25], 8
	s_mov_b32 s30, 0
.LBB0_1013:                             ;   in Loop: Header=BB0_979 Depth=2
	global_load_b64 v[26:27], v3, s[24:25]
	s_add_co_i32 s30, s31, -8
.LBB0_1014:                             ;   in Loop: Header=BB0_979 Depth=2
	s_delay_alu instid0(SALU_CYCLE_1)
	s_cmp_gt_u32 s30, 7
	s_cbranch_scc1 .LBB0_1019
; %bb.1015:                             ;   in Loop: Header=BB0_979 Depth=2
	v_mov_b64_e32 v[28:29], 0
	s_cmp_eq_u32 s30, 0
	s_cbranch_scc1 .LBB0_1018
; %bb.1016:                             ;   in Loop: Header=BB0_979 Depth=2
	s_wait_xcnt 0x0
	s_mov_b64 s[24:25], 0
	s_mov_b64 s[26:27], 0
.LBB0_1017:                             ;   Parent Loop BB0_839 Depth=1
                                        ;     Parent Loop BB0_979 Depth=2
                                        ; =>    This Inner Loop Header: Depth=3
	s_wait_xcnt 0x0
	s_add_nc_u64 s[34:35], s[0:1], s[26:27]
	s_add_nc_u64 s[26:27], s[26:27], 1
	global_load_u8 v1, v3, s[34:35]
	s_cmp_lg_u32 s30, s26
	s_wait_loadcnt 0x0
	v_and_b32_e32 v2, 0xffff, v1
	s_delay_alu instid0(VALU_DEP_1) | instskip(SKIP_1) | instid1(VALU_DEP_1)
	v_lshlrev_b64_e32 v[30:31], s24, v[2:3]
	s_add_nc_u64 s[24:25], s[24:25], 8
	v_or_b32_e32 v28, v30, v28
	s_delay_alu instid0(VALU_DEP_2)
	v_or_b32_e32 v29, v31, v29
	s_cbranch_scc1 .LBB0_1017
.LBB0_1018:                             ;   in Loop: Header=BB0_979 Depth=2
	s_wait_xcnt 0x0
	s_mov_b64 s[24:25], s[0:1]
	s_mov_b32 s31, 0
	s_cbranch_execz .LBB0_1020
	s_branch .LBB0_1021
.LBB0_1019:                             ;   in Loop: Header=BB0_979 Depth=2
	s_wait_xcnt 0x0
	s_add_nc_u64 s[24:25], s[0:1], 8
                                        ; implicit-def: $vgpr28_vgpr29
	s_mov_b32 s31, 0
.LBB0_1020:                             ;   in Loop: Header=BB0_979 Depth=2
	global_load_b64 v[28:29], v3, s[0:1]
	s_add_co_i32 s31, s30, -8
.LBB0_1021:                             ;   in Loop: Header=BB0_979 Depth=2
	s_delay_alu instid0(SALU_CYCLE_1)
	s_cmp_gt_u32 s31, 7
	s_cbranch_scc1 .LBB0_1026
; %bb.1022:                             ;   in Loop: Header=BB0_979 Depth=2
	v_mov_b64_e32 v[30:31], 0
	s_cmp_eq_u32 s31, 0
	s_cbranch_scc1 .LBB0_1025
; %bb.1023:                             ;   in Loop: Header=BB0_979 Depth=2
	s_wait_xcnt 0x0
	s_mov_b64 s[0:1], 0
	s_mov_b64 s[26:27], s[24:25]
.LBB0_1024:                             ;   Parent Loop BB0_839 Depth=1
                                        ;     Parent Loop BB0_979 Depth=2
                                        ; =>    This Inner Loop Header: Depth=3
	global_load_u8 v1, v3, s[26:27]
	s_add_co_i32 s31, s31, -1
	s_wait_xcnt 0x0
	s_add_nc_u64 s[26:27], s[26:27], 1
	s_cmp_lg_u32 s31, 0
	s_wait_loadcnt 0x0
	v_and_b32_e32 v2, 0xffff, v1
	s_delay_alu instid0(VALU_DEP_1) | instskip(SKIP_1) | instid1(VALU_DEP_1)
	v_lshlrev_b64_e32 v[32:33], s0, v[2:3]
	s_add_nc_u64 s[0:1], s[0:1], 8
	v_or_b32_e32 v30, v32, v30
	s_delay_alu instid0(VALU_DEP_2)
	v_or_b32_e32 v31, v33, v31
	s_cbranch_scc1 .LBB0_1024
.LBB0_1025:                             ;   in Loop: Header=BB0_979 Depth=2
	s_wait_xcnt 0x0
	s_cbranch_execz .LBB0_1027
	s_branch .LBB0_1028
.LBB0_1026:                             ;   in Loop: Header=BB0_979 Depth=2
	s_wait_xcnt 0x0
.LBB0_1027:                             ;   in Loop: Header=BB0_979 Depth=2
	global_load_b64 v[30:31], v3, s[24:25]
.LBB0_1028:                             ;   in Loop: Header=BB0_979 Depth=2
	v_readfirstlane_b32 s0, v46
	v_mov_b64_e32 v[40:41], 0
	s_delay_alu instid0(VALU_DEP_2)
	v_cmp_eq_u32_e64 s0, s0, v46
	s_wait_xcnt 0x0
	s_and_saveexec_b32 s1, s0
	s_cbranch_execz .LBB0_1034
; %bb.1029:                             ;   in Loop: Header=BB0_979 Depth=2
	global_load_b64 v[34:35], v3, s[16:17] offset:24 scope:SCOPE_SYS
	s_wait_loadcnt 0x0
	global_inv scope:SCOPE_SYS
	s_clause 0x1
	global_load_b64 v[32:33], v3, s[16:17] offset:40
	global_load_b64 v[40:41], v3, s[16:17]
	s_mov_b32 s24, exec_lo
	s_wait_loadcnt 0x1
	v_and_b32_e32 v32, v32, v34
	v_and_b32_e32 v33, v33, v35
	s_delay_alu instid0(VALU_DEP_1) | instskip(SKIP_1) | instid1(VALU_DEP_1)
	v_mul_u64_e32 v[32:33], 24, v[32:33]
	s_wait_loadcnt 0x0
	v_add_nc_u64_e32 v[32:33], v[40:41], v[32:33]
	global_load_b64 v[32:33], v[32:33], off scope:SCOPE_SYS
	s_wait_xcnt 0x0
	s_wait_loadcnt 0x0
	global_atomic_cmpswap_b64 v[40:41], v3, v[32:35], s[16:17] offset:24 th:TH_ATOMIC_RETURN scope:SCOPE_SYS
	s_wait_loadcnt 0x0
	global_inv scope:SCOPE_SYS
	s_wait_xcnt 0x0
	v_cmpx_ne_u64_e64 v[40:41], v[34:35]
	s_cbranch_execz .LBB0_1033
; %bb.1030:                             ;   in Loop: Header=BB0_979 Depth=2
	s_mov_b32 s25, 0
.LBB0_1031:                             ;   Parent Loop BB0_839 Depth=1
                                        ;     Parent Loop BB0_979 Depth=2
                                        ; =>    This Inner Loop Header: Depth=3
	s_sleep 1
	s_clause 0x1
	global_load_b64 v[32:33], v3, s[16:17] offset:40
	global_load_b64 v[42:43], v3, s[16:17]
	v_mov_b64_e32 v[34:35], v[40:41]
	s_wait_loadcnt 0x1
	s_delay_alu instid0(VALU_DEP_1) | instskip(SKIP_1) | instid1(VALU_DEP_1)
	v_and_b32_e32 v1, v32, v34
	s_wait_loadcnt 0x0
	v_mad_nc_u64_u32 v[40:41], v1, 24, v[42:43]
	s_delay_alu instid0(VALU_DEP_3) | instskip(NEXT) | instid1(VALU_DEP_1)
	v_and_b32_e32 v1, v33, v35
	v_mad_u32 v41, v1, 24, v41
	global_load_b64 v[32:33], v[40:41], off scope:SCOPE_SYS
	s_wait_xcnt 0x0
	s_wait_loadcnt 0x0
	global_atomic_cmpswap_b64 v[40:41], v3, v[32:35], s[16:17] offset:24 th:TH_ATOMIC_RETURN scope:SCOPE_SYS
	s_wait_loadcnt 0x0
	global_inv scope:SCOPE_SYS
	v_cmp_eq_u64_e32 vcc_lo, v[40:41], v[34:35]
	s_or_b32 s25, vcc_lo, s25
	s_wait_xcnt 0x0
	s_and_not1_b32 exec_lo, exec_lo, s25
	s_cbranch_execnz .LBB0_1031
; %bb.1032:                             ;   in Loop: Header=BB0_979 Depth=2
	s_or_b32 exec_lo, exec_lo, s25
.LBB0_1033:                             ;   in Loop: Header=BB0_979 Depth=2
	s_delay_alu instid0(SALU_CYCLE_1)
	s_or_b32 exec_lo, exec_lo, s24
.LBB0_1034:                             ;   in Loop: Header=BB0_979 Depth=2
	s_delay_alu instid0(SALU_CYCLE_1)
	s_or_b32 exec_lo, exec_lo, s1
	s_clause 0x1
	global_load_b64 v[42:43], v3, s[16:17] offset:40
	global_load_b128 v[32:35], v3, s[16:17]
	v_readfirstlane_b32 s24, v40
	v_readfirstlane_b32 s25, v41
	s_mov_b32 s1, exec_lo
	s_wait_loadcnt 0x1
	v_and_b32_e32 v42, s24, v42
	v_and_b32_e32 v43, s25, v43
	s_delay_alu instid0(VALU_DEP_1) | instskip(SKIP_1) | instid1(VALU_DEP_1)
	v_mul_u64_e32 v[40:41], 24, v[42:43]
	s_wait_loadcnt 0x0
	v_add_nc_u64_e32 v[40:41], v[32:33], v[40:41]
	s_wait_xcnt 0x0
	s_and_saveexec_b32 s26, s0
	s_cbranch_execz .LBB0_1036
; %bb.1035:                             ;   in Loop: Header=BB0_979 Depth=2
	v_mov_b32_e32 v2, s1
	global_store_b128 v[40:41], v[2:5], off offset:8
.LBB0_1036:                             ;   in Loop: Header=BB0_979 Depth=2
	s_wait_xcnt 0x0
	s_or_b32 exec_lo, exec_lo, s26
	v_cmp_lt_u64_e64 vcc_lo, s[10:11], 57
	v_lshlrev_b64_e32 v[42:43], 12, v[42:43]
	v_and_b32_e32 v2, 0xffffff1f, v16
	s_lshl_b32 s1, s14, 2
	s_delay_alu instid0(SALU_CYCLE_1) | instskip(SKIP_1) | instid1(VALU_DEP_3)
	s_add_co_i32 s1, s1, 28
	v_cndmask_b32_e32 v1, 0, v38, vcc_lo
	v_add_nc_u64_e32 v[34:35], v[34:35], v[42:43]
	s_delay_alu instid0(VALU_DEP_2) | instskip(NEXT) | instid1(VALU_DEP_2)
	v_or_b32_e32 v1, v2, v1
	v_readfirstlane_b32 s26, v34
	s_delay_alu instid0(VALU_DEP_3) | instskip(NEXT) | instid1(VALU_DEP_3)
	v_readfirstlane_b32 s27, v35
	v_and_or_b32 v16, 0x1e0, s1, v1
	s_clause 0x3
	global_store_b128 v0, v[16:19], s[26:27]
	global_store_b128 v0, v[20:23], s[26:27] offset:16
	global_store_b128 v0, v[24:27], s[26:27] offset:32
	;; [unrolled: 1-line block ×3, first 2 shown]
	s_wait_xcnt 0x0
	s_and_saveexec_b32 s1, s0
	s_cbranch_execz .LBB0_1044
; %bb.1037:                             ;   in Loop: Header=BB0_979 Depth=2
	s_clause 0x1
	global_load_b64 v[24:25], v3, s[16:17] offset:32 scope:SCOPE_SYS
	global_load_b64 v[16:17], v3, s[16:17] offset:40
	s_mov_b32 s26, exec_lo
	v_dual_mov_b32 v22, s24 :: v_dual_mov_b32 v23, s25
	s_wait_loadcnt 0x0
	v_and_b32_e32 v17, s25, v17
	v_and_b32_e32 v16, s24, v16
	s_delay_alu instid0(VALU_DEP_1) | instskip(NEXT) | instid1(VALU_DEP_1)
	v_mul_u64_e32 v[16:17], 24, v[16:17]
	v_add_nc_u64_e32 v[20:21], v[32:33], v[16:17]
	global_store_b64 v[20:21], v[24:25], off
	global_wb scope:SCOPE_SYS
	s_wait_storecnt 0x0
	s_wait_xcnt 0x0
	global_atomic_cmpswap_b64 v[18:19], v3, v[22:25], s[16:17] offset:32 th:TH_ATOMIC_RETURN scope:SCOPE_SYS
	s_wait_loadcnt 0x0
	v_cmpx_ne_u64_e64 v[18:19], v[24:25]
	s_cbranch_execz .LBB0_1040
; %bb.1038:                             ;   in Loop: Header=BB0_979 Depth=2
	s_mov_b32 s27, 0
.LBB0_1039:                             ;   Parent Loop BB0_839 Depth=1
                                        ;     Parent Loop BB0_979 Depth=2
                                        ; =>    This Inner Loop Header: Depth=3
	v_dual_mov_b32 v16, s24 :: v_dual_mov_b32 v17, s25
	s_sleep 1
	global_store_b64 v[20:21], v[18:19], off
	global_wb scope:SCOPE_SYS
	s_wait_storecnt 0x0
	s_wait_xcnt 0x0
	global_atomic_cmpswap_b64 v[16:17], v3, v[16:19], s[16:17] offset:32 th:TH_ATOMIC_RETURN scope:SCOPE_SYS
	s_wait_loadcnt 0x0
	v_cmp_eq_u64_e32 vcc_lo, v[16:17], v[18:19]
	v_mov_b64_e32 v[18:19], v[16:17]
	s_or_b32 s27, vcc_lo, s27
	s_delay_alu instid0(SALU_CYCLE_1)
	s_and_not1_b32 exec_lo, exec_lo, s27
	s_cbranch_execnz .LBB0_1039
.LBB0_1040:                             ;   in Loop: Header=BB0_979 Depth=2
	s_or_b32 exec_lo, exec_lo, s26
	global_load_b64 v[16:17], v3, s[16:17] offset:16
	s_mov_b32 s27, exec_lo
	s_mov_b32 s26, exec_lo
	v_mbcnt_lo_u32_b32 v1, s27, 0
	s_wait_xcnt 0x0
	s_delay_alu instid0(VALU_DEP_1)
	v_cmpx_eq_u32_e32 0, v1
	s_cbranch_execz .LBB0_1042
; %bb.1041:                             ;   in Loop: Header=BB0_979 Depth=2
	s_bcnt1_i32_b32 s27, s27
	s_delay_alu instid0(SALU_CYCLE_1)
	v_mov_b32_e32 v2, s27
	global_wb scope:SCOPE_SYS
	s_wait_loadcnt 0x0
	s_wait_storecnt 0x0
	global_atomic_add_u64 v[16:17], v[2:3], off offset:8 scope:SCOPE_SYS
.LBB0_1042:                             ;   in Loop: Header=BB0_979 Depth=2
	s_wait_xcnt 0x0
	s_or_b32 exec_lo, exec_lo, s26
	s_wait_loadcnt 0x0
	global_load_b64 v[18:19], v[16:17], off offset:16
	s_wait_loadcnt 0x0
	v_cmp_eq_u64_e32 vcc_lo, 0, v[18:19]
	s_cbranch_vccnz .LBB0_1044
; %bb.1043:                             ;   in Loop: Header=BB0_979 Depth=2
	global_load_b32 v2, v[16:17], off offset:24
	s_wait_loadcnt 0x0
	v_readfirstlane_b32 s26, v2
	global_wb scope:SCOPE_SYS
	s_wait_storecnt 0x0
	s_wait_xcnt 0x0
	global_store_b64 v[18:19], v[2:3], off scope:SCOPE_SYS
	s_and_b32 m0, s26, 0xffffff
	s_sendmsg sendmsg(MSG_INTERRUPT)
.LBB0_1044:                             ;   in Loop: Header=BB0_979 Depth=2
	s_wait_xcnt 0x0
	s_or_b32 exec_lo, exec_lo, s1
	v_mov_b32_e32 v1, v3
	s_delay_alu instid0(VALU_DEP_1)
	v_add_nc_u64_e32 v[16:17], v[34:35], v[0:1]
	s_branch .LBB0_1048
.LBB0_1045:                             ;   in Loop: Header=BB0_1048 Depth=3
	s_wait_xcnt 0x0
	s_or_b32 exec_lo, exec_lo, s1
	s_delay_alu instid0(VALU_DEP_1)
	v_readfirstlane_b32 s1, v1
	s_cmp_eq_u32 s1, 0
	s_cbranch_scc1 .LBB0_1047
; %bb.1046:                             ;   in Loop: Header=BB0_1048 Depth=3
	s_sleep 1
	s_cbranch_execnz .LBB0_1048
	s_branch .LBB0_1050
.LBB0_1047:                             ;   in Loop: Header=BB0_979 Depth=2
	s_branch .LBB0_1050
.LBB0_1048:                             ;   Parent Loop BB0_839 Depth=1
                                        ;     Parent Loop BB0_979 Depth=2
                                        ; =>    This Inner Loop Header: Depth=3
	v_mov_b32_e32 v1, 1
	s_and_saveexec_b32 s1, s0
	s_cbranch_execz .LBB0_1045
; %bb.1049:                             ;   in Loop: Header=BB0_1048 Depth=3
	global_load_b32 v1, v[40:41], off offset:20 scope:SCOPE_SYS
	s_wait_loadcnt 0x0
	global_inv scope:SCOPE_SYS
	v_and_b32_e32 v1, 1, v1
	s_branch .LBB0_1045
.LBB0_1050:                             ;   in Loop: Header=BB0_979 Depth=2
	global_load_b64 v[16:17], v[16:17], off
	s_wait_xcnt 0x0
	s_and_saveexec_b32 s26, s0
	s_cbranch_execz .LBB0_978
; %bb.1051:                             ;   in Loop: Header=BB0_979 Depth=2
	s_clause 0x2
	global_load_b64 v[18:19], v3, s[16:17] offset:40
	global_load_b64 v[26:27], v3, s[16:17] offset:24 scope:SCOPE_SYS
	global_load_b64 v[20:21], v3, s[16:17]
	s_wait_loadcnt 0x2
	v_readfirstlane_b32 s30, v18
	v_readfirstlane_b32 s31, v19
	s_add_nc_u64 s[0:1], s[30:31], 1
	s_delay_alu instid0(SALU_CYCLE_1) | instskip(NEXT) | instid1(SALU_CYCLE_1)
	s_add_nc_u64 s[24:25], s[0:1], s[24:25]
	s_cmp_eq_u64 s[24:25], 0
	s_cselect_b32 s1, s1, s25
	s_cselect_b32 s0, s0, s24
	s_delay_alu instid0(SALU_CYCLE_1) | instskip(SKIP_1) | instid1(SALU_CYCLE_1)
	v_dual_mov_b32 v25, s1 :: v_dual_mov_b32 v24, s0
	s_and_b64 s[24:25], s[0:1], s[30:31]
	s_mul_u64 s[24:25], s[24:25], 24
	s_wait_loadcnt 0x0
	v_add_nc_u64_e32 v[22:23], s[24:25], v[20:21]
	global_store_b64 v[22:23], v[26:27], off
	global_wb scope:SCOPE_SYS
	s_wait_storecnt 0x0
	s_wait_xcnt 0x0
	global_atomic_cmpswap_b64 v[20:21], v3, v[24:27], s[16:17] offset:24 th:TH_ATOMIC_RETURN scope:SCOPE_SYS
	s_wait_loadcnt 0x0
	v_cmp_ne_u64_e32 vcc_lo, v[20:21], v[26:27]
	s_and_b32 exec_lo, exec_lo, vcc_lo
	s_cbranch_execz .LBB0_978
; %bb.1052:                             ;   in Loop: Header=BB0_979 Depth=2
	s_mov_b32 s24, 0
.LBB0_1053:                             ;   Parent Loop BB0_839 Depth=1
                                        ;     Parent Loop BB0_979 Depth=2
                                        ; =>    This Inner Loop Header: Depth=3
	v_dual_mov_b32 v18, s0 :: v_dual_mov_b32 v19, s1
	s_sleep 1
	global_store_b64 v[22:23], v[20:21], off
	global_wb scope:SCOPE_SYS
	s_wait_storecnt 0x0
	s_wait_xcnt 0x0
	global_atomic_cmpswap_b64 v[18:19], v3, v[18:21], s[16:17] offset:24 th:TH_ATOMIC_RETURN scope:SCOPE_SYS
	s_wait_loadcnt 0x0
	v_cmp_eq_u64_e32 vcc_lo, v[18:19], v[20:21]
	v_mov_b64_e32 v[20:21], v[18:19]
	s_or_b32 s24, vcc_lo, s24
	s_delay_alu instid0(SALU_CYCLE_1)
	s_and_not1_b32 exec_lo, exec_lo, s24
	s_cbranch_execnz .LBB0_1053
	s_branch .LBB0_978
.LBB0_1054:                             ;   in Loop: Header=BB0_839 Depth=1
	s_branch .LBB0_1083
.LBB0_1055:                             ;   in Loop: Header=BB0_839 Depth=1
                                        ; implicit-def: $vgpr16_vgpr17
	s_cbranch_execz .LBB0_1083
; %bb.1056:                             ;   in Loop: Header=BB0_839 Depth=1
	v_readfirstlane_b32 s0, v46
	s_wait_loadcnt 0x0
	v_mov_b64_e32 v[16:17], 0
	s_delay_alu instid0(VALU_DEP_2)
	v_cmp_eq_u32_e64 s0, s0, v46
	s_and_saveexec_b32 s1, s0
	s_cbranch_execz .LBB0_1062
; %bb.1057:                             ;   in Loop: Header=BB0_839 Depth=1
	global_load_b64 v[18:19], v3, s[16:17] offset:24 scope:SCOPE_SYS
	s_wait_loadcnt 0x0
	global_inv scope:SCOPE_SYS
	s_clause 0x1
	global_load_b64 v[16:17], v3, s[16:17] offset:40
	global_load_b64 v[20:21], v3, s[16:17]
	s_mov_b32 s8, exec_lo
	s_wait_loadcnt 0x1
	v_and_b32_e32 v16, v16, v18
	v_and_b32_e32 v17, v17, v19
	s_delay_alu instid0(VALU_DEP_1) | instskip(SKIP_1) | instid1(VALU_DEP_1)
	v_mul_u64_e32 v[16:17], 24, v[16:17]
	s_wait_loadcnt 0x0
	v_add_nc_u64_e32 v[16:17], v[20:21], v[16:17]
	global_load_b64 v[16:17], v[16:17], off scope:SCOPE_SYS
	s_wait_xcnt 0x0
	s_wait_loadcnt 0x0
	global_atomic_cmpswap_b64 v[16:17], v3, v[16:19], s[16:17] offset:24 th:TH_ATOMIC_RETURN scope:SCOPE_SYS
	s_wait_loadcnt 0x0
	global_inv scope:SCOPE_SYS
	s_wait_xcnt 0x0
	v_cmpx_ne_u64_e64 v[16:17], v[18:19]
	s_cbranch_execz .LBB0_1061
; %bb.1058:                             ;   in Loop: Header=BB0_839 Depth=1
	s_mov_b32 s9, 0
.LBB0_1059:                             ;   Parent Loop BB0_839 Depth=1
                                        ; =>  This Inner Loop Header: Depth=2
	s_sleep 1
	s_clause 0x1
	global_load_b64 v[20:21], v3, s[16:17] offset:40
	global_load_b64 v[22:23], v3, s[16:17]
	v_mov_b64_e32 v[18:19], v[16:17]
	s_wait_loadcnt 0x1
	s_delay_alu instid0(VALU_DEP_1) | instskip(SKIP_1) | instid1(VALU_DEP_1)
	v_and_b32_e32 v1, v20, v18
	s_wait_loadcnt 0x0
	v_mad_nc_u64_u32 v[16:17], v1, 24, v[22:23]
	s_delay_alu instid0(VALU_DEP_3) | instskip(NEXT) | instid1(VALU_DEP_1)
	v_and_b32_e32 v1, v21, v19
	v_mad_u32 v17, v1, 24, v17
	global_load_b64 v[16:17], v[16:17], off scope:SCOPE_SYS
	s_wait_xcnt 0x0
	s_wait_loadcnt 0x0
	global_atomic_cmpswap_b64 v[16:17], v3, v[16:19], s[16:17] offset:24 th:TH_ATOMIC_RETURN scope:SCOPE_SYS
	s_wait_loadcnt 0x0
	global_inv scope:SCOPE_SYS
	v_cmp_eq_u64_e32 vcc_lo, v[16:17], v[18:19]
	s_or_b32 s9, vcc_lo, s9
	s_wait_xcnt 0x0
	s_and_not1_b32 exec_lo, exec_lo, s9
	s_cbranch_execnz .LBB0_1059
; %bb.1060:                             ;   in Loop: Header=BB0_839 Depth=1
	s_or_b32 exec_lo, exec_lo, s9
.LBB0_1061:                             ;   in Loop: Header=BB0_839 Depth=1
	s_delay_alu instid0(SALU_CYCLE_1)
	s_or_b32 exec_lo, exec_lo, s8
.LBB0_1062:                             ;   in Loop: Header=BB0_839 Depth=1
	s_delay_alu instid0(SALU_CYCLE_1)
	s_or_b32 exec_lo, exec_lo, s1
	s_clause 0x1
	global_load_b64 v[22:23], v3, s[16:17] offset:40
	global_load_b128 v[18:21], v3, s[16:17]
	v_readfirstlane_b32 s8, v16
	v_readfirstlane_b32 s9, v17
	s_mov_b32 s1, exec_lo
	s_wait_loadcnt 0x1
	v_and_b32_e32 v16, s8, v22
	v_and_b32_e32 v17, s9, v23
	s_delay_alu instid0(VALU_DEP_1) | instskip(SKIP_1) | instid1(VALU_DEP_1)
	v_mul_u64_e32 v[22:23], 24, v[16:17]
	s_wait_loadcnt 0x0
	v_add_nc_u64_e32 v[22:23], v[18:19], v[22:23]
	s_wait_xcnt 0x0
	s_and_saveexec_b32 s10, s0
	s_cbranch_execz .LBB0_1064
; %bb.1063:                             ;   in Loop: Header=BB0_839 Depth=1
	v_mov_b32_e32 v2, s1
	global_store_b128 v[22:23], v[2:5], off offset:8
.LBB0_1064:                             ;   in Loop: Header=BB0_839 Depth=1
	s_wait_xcnt 0x0
	s_or_b32 exec_lo, exec_lo, s10
	v_lshlrev_b64_e32 v[16:17], 12, v[16:17]
	v_mov_b64_e32 v[26:27], s[6:7]
	v_mov_b64_e32 v[24:25], s[4:5]
	v_and_or_b32 v14, 0xffffff1f, v14, 32
	s_delay_alu instid0(VALU_DEP_4) | instskip(SKIP_1) | instid1(VALU_DEP_2)
	v_add_nc_u64_e32 v[20:21], v[20:21], v[16:17]
	v_dual_mov_b32 v16, v3 :: v_dual_mov_b32 v17, v3
	v_readfirstlane_b32 s10, v20
	s_delay_alu instid0(VALU_DEP_3)
	v_readfirstlane_b32 s11, v21
	s_clause 0x3
	global_store_b128 v0, v[14:17], s[10:11]
	global_store_b128 v0, v[24:27], s[10:11] offset:16
	global_store_b128 v0, v[24:27], s[10:11] offset:32
	;; [unrolled: 1-line block ×3, first 2 shown]
	s_wait_xcnt 0x0
	s_and_saveexec_b32 s1, s0
	s_cbranch_execz .LBB0_1072
; %bb.1065:                             ;   in Loop: Header=BB0_839 Depth=1
	s_clause 0x1
	global_load_b64 v[26:27], v3, s[16:17] offset:32 scope:SCOPE_SYS
	global_load_b64 v[14:15], v3, s[16:17] offset:40
	s_mov_b32 s10, exec_lo
	v_dual_mov_b32 v24, s8 :: v_dual_mov_b32 v25, s9
	s_wait_loadcnt 0x0
	v_and_b32_e32 v15, s9, v15
	v_and_b32_e32 v14, s8, v14
	s_delay_alu instid0(VALU_DEP_1) | instskip(NEXT) | instid1(VALU_DEP_1)
	v_mul_u64_e32 v[14:15], 24, v[14:15]
	v_add_nc_u64_e32 v[18:19], v[18:19], v[14:15]
	global_store_b64 v[18:19], v[26:27], off
	global_wb scope:SCOPE_SYS
	s_wait_storecnt 0x0
	s_wait_xcnt 0x0
	global_atomic_cmpswap_b64 v[16:17], v3, v[24:27], s[16:17] offset:32 th:TH_ATOMIC_RETURN scope:SCOPE_SYS
	s_wait_loadcnt 0x0
	v_cmpx_ne_u64_e64 v[16:17], v[26:27]
	s_cbranch_execz .LBB0_1068
; %bb.1066:                             ;   in Loop: Header=BB0_839 Depth=1
	s_mov_b32 s11, 0
.LBB0_1067:                             ;   Parent Loop BB0_839 Depth=1
                                        ; =>  This Inner Loop Header: Depth=2
	v_dual_mov_b32 v14, s8 :: v_dual_mov_b32 v15, s9
	s_sleep 1
	global_store_b64 v[18:19], v[16:17], off
	global_wb scope:SCOPE_SYS
	s_wait_storecnt 0x0
	s_wait_xcnt 0x0
	global_atomic_cmpswap_b64 v[14:15], v3, v[14:17], s[16:17] offset:32 th:TH_ATOMIC_RETURN scope:SCOPE_SYS
	s_wait_loadcnt 0x0
	v_cmp_eq_u64_e32 vcc_lo, v[14:15], v[16:17]
	v_mov_b64_e32 v[16:17], v[14:15]
	s_or_b32 s11, vcc_lo, s11
	s_delay_alu instid0(SALU_CYCLE_1)
	s_and_not1_b32 exec_lo, exec_lo, s11
	s_cbranch_execnz .LBB0_1067
.LBB0_1068:                             ;   in Loop: Header=BB0_839 Depth=1
	s_or_b32 exec_lo, exec_lo, s10
	global_load_b64 v[14:15], v3, s[16:17] offset:16
	s_mov_b32 s11, exec_lo
	s_mov_b32 s10, exec_lo
	v_mbcnt_lo_u32_b32 v1, s11, 0
	s_wait_xcnt 0x0
	s_delay_alu instid0(VALU_DEP_1)
	v_cmpx_eq_u32_e32 0, v1
	s_cbranch_execz .LBB0_1070
; %bb.1069:                             ;   in Loop: Header=BB0_839 Depth=1
	s_bcnt1_i32_b32 s11, s11
	s_delay_alu instid0(SALU_CYCLE_1)
	v_mov_b32_e32 v2, s11
	global_wb scope:SCOPE_SYS
	s_wait_loadcnt 0x0
	s_wait_storecnt 0x0
	global_atomic_add_u64 v[14:15], v[2:3], off offset:8 scope:SCOPE_SYS
.LBB0_1070:                             ;   in Loop: Header=BB0_839 Depth=1
	s_wait_xcnt 0x0
	s_or_b32 exec_lo, exec_lo, s10
	s_wait_loadcnt 0x0
	global_load_b64 v[16:17], v[14:15], off offset:16
	s_wait_loadcnt 0x0
	v_cmp_eq_u64_e32 vcc_lo, 0, v[16:17]
	s_cbranch_vccnz .LBB0_1072
; %bb.1071:                             ;   in Loop: Header=BB0_839 Depth=1
	global_load_b32 v2, v[14:15], off offset:24
	s_wait_loadcnt 0x0
	v_readfirstlane_b32 s10, v2
	global_wb scope:SCOPE_SYS
	s_wait_storecnt 0x0
	s_wait_xcnt 0x0
	global_store_b64 v[16:17], v[2:3], off scope:SCOPE_SYS
	s_and_b32 m0, s10, 0xffffff
	s_sendmsg sendmsg(MSG_INTERRUPT)
.LBB0_1072:                             ;   in Loop: Header=BB0_839 Depth=1
	s_wait_xcnt 0x0
	s_or_b32 exec_lo, exec_lo, s1
	v_mov_b32_e32 v1, v3
	s_delay_alu instid0(VALU_DEP_1)
	v_add_nc_u64_e32 v[14:15], v[20:21], v[0:1]
	s_branch .LBB0_1076
.LBB0_1073:                             ;   in Loop: Header=BB0_1076 Depth=2
	s_wait_xcnt 0x0
	s_or_b32 exec_lo, exec_lo, s1
	s_delay_alu instid0(VALU_DEP_1)
	v_readfirstlane_b32 s1, v1
	s_cmp_eq_u32 s1, 0
	s_cbranch_scc1 .LBB0_1075
; %bb.1074:                             ;   in Loop: Header=BB0_1076 Depth=2
	s_sleep 1
	s_cbranch_execnz .LBB0_1076
	s_branch .LBB0_1078
.LBB0_1075:                             ;   in Loop: Header=BB0_839 Depth=1
	s_branch .LBB0_1078
.LBB0_1076:                             ;   Parent Loop BB0_839 Depth=1
                                        ; =>  This Inner Loop Header: Depth=2
	v_mov_b32_e32 v1, 1
	s_and_saveexec_b32 s1, s0
	s_cbranch_execz .LBB0_1073
; %bb.1077:                             ;   in Loop: Header=BB0_1076 Depth=2
	global_load_b32 v1, v[22:23], off offset:20 scope:SCOPE_SYS
	s_wait_loadcnt 0x0
	global_inv scope:SCOPE_SYS
	v_and_b32_e32 v1, 1, v1
	s_branch .LBB0_1073
.LBB0_1078:                             ;   in Loop: Header=BB0_839 Depth=1
	global_load_b64 v[16:17], v[14:15], off
	s_wait_xcnt 0x0
	s_and_saveexec_b32 s10, s0
	s_cbranch_execz .LBB0_1082
; %bb.1079:                             ;   in Loop: Header=BB0_839 Depth=1
	s_clause 0x2
	global_load_b64 v[14:15], v3, s[16:17] offset:40
	global_load_b64 v[22:23], v3, s[16:17] offset:24 scope:SCOPE_SYS
	global_load_b64 v[18:19], v3, s[16:17]
	s_wait_loadcnt 0x2
	v_readfirstlane_b32 s14, v14
	v_readfirstlane_b32 s15, v15
	s_add_nc_u64 s[0:1], s[14:15], 1
	s_delay_alu instid0(SALU_CYCLE_1) | instskip(NEXT) | instid1(SALU_CYCLE_1)
	s_add_nc_u64 s[8:9], s[0:1], s[8:9]
	s_cmp_eq_u64 s[8:9], 0
	s_cselect_b32 s1, s1, s9
	s_cselect_b32 s0, s0, s8
	s_delay_alu instid0(SALU_CYCLE_1) | instskip(SKIP_1) | instid1(SALU_CYCLE_1)
	v_dual_mov_b32 v21, s1 :: v_dual_mov_b32 v20, s0
	s_and_b64 s[8:9], s[0:1], s[14:15]
	s_mul_u64 s[8:9], s[8:9], 24
	s_wait_loadcnt 0x0
	v_add_nc_u64_e32 v[14:15], s[8:9], v[18:19]
	global_store_b64 v[14:15], v[22:23], off
	global_wb scope:SCOPE_SYS
	s_wait_storecnt 0x0
	s_wait_xcnt 0x0
	global_atomic_cmpswap_b64 v[20:21], v3, v[20:23], s[16:17] offset:24 th:TH_ATOMIC_RETURN scope:SCOPE_SYS
	s_wait_loadcnt 0x0
	v_cmp_ne_u64_e32 vcc_lo, v[20:21], v[22:23]
	s_and_b32 exec_lo, exec_lo, vcc_lo
	s_cbranch_execz .LBB0_1082
; %bb.1080:                             ;   in Loop: Header=BB0_839 Depth=1
	s_mov_b32 s8, 0
.LBB0_1081:                             ;   Parent Loop BB0_839 Depth=1
                                        ; =>  This Inner Loop Header: Depth=2
	v_dual_mov_b32 v18, s0 :: v_dual_mov_b32 v19, s1
	s_sleep 1
	global_store_b64 v[14:15], v[20:21], off
	global_wb scope:SCOPE_SYS
	s_wait_storecnt 0x0
	s_wait_xcnt 0x0
	global_atomic_cmpswap_b64 v[18:19], v3, v[18:21], s[16:17] offset:24 th:TH_ATOMIC_RETURN scope:SCOPE_SYS
	s_wait_loadcnt 0x0
	v_cmp_eq_u64_e32 vcc_lo, v[18:19], v[20:21]
	v_mov_b64_e32 v[20:21], v[18:19]
	s_or_b32 s8, vcc_lo, s8
	s_delay_alu instid0(SALU_CYCLE_1)
	s_and_not1_b32 exec_lo, exec_lo, s8
	s_cbranch_execnz .LBB0_1081
.LBB0_1082:                             ;   in Loop: Header=BB0_839 Depth=1
	s_or_b32 exec_lo, exec_lo, s10
.LBB0_1083:                             ;   in Loop: Header=BB0_839 Depth=1
	v_readfirstlane_b32 s0, v46
	s_wait_loadcnt 0x0
	v_mov_b64_e32 v[14:15], 0
	s_delay_alu instid0(VALU_DEP_2)
	v_cmp_eq_u32_e64 s0, s0, v46
	s_and_saveexec_b32 s1, s0
	s_cbranch_execz .LBB0_1089
; %bb.1084:                             ;   in Loop: Header=BB0_839 Depth=1
	global_load_b64 v[20:21], v3, s[16:17] offset:24 scope:SCOPE_SYS
	s_wait_loadcnt 0x0
	global_inv scope:SCOPE_SYS
	s_clause 0x1
	global_load_b64 v[14:15], v3, s[16:17] offset:40
	global_load_b64 v[18:19], v3, s[16:17]
	s_mov_b32 s8, exec_lo
	s_wait_loadcnt 0x1
	v_and_b32_e32 v14, v14, v20
	v_and_b32_e32 v15, v15, v21
	s_delay_alu instid0(VALU_DEP_1) | instskip(SKIP_1) | instid1(VALU_DEP_1)
	v_mul_u64_e32 v[14:15], 24, v[14:15]
	s_wait_loadcnt 0x0
	v_add_nc_u64_e32 v[14:15], v[18:19], v[14:15]
	global_load_b64 v[18:19], v[14:15], off scope:SCOPE_SYS
	s_wait_xcnt 0x0
	s_wait_loadcnt 0x0
	global_atomic_cmpswap_b64 v[14:15], v3, v[18:21], s[16:17] offset:24 th:TH_ATOMIC_RETURN scope:SCOPE_SYS
	s_wait_loadcnt 0x0
	global_inv scope:SCOPE_SYS
	s_wait_xcnt 0x0
	v_cmpx_ne_u64_e64 v[14:15], v[20:21]
	s_cbranch_execz .LBB0_1088
; %bb.1085:                             ;   in Loop: Header=BB0_839 Depth=1
	s_mov_b32 s9, 0
.LBB0_1086:                             ;   Parent Loop BB0_839 Depth=1
                                        ; =>  This Inner Loop Header: Depth=2
	s_sleep 1
	s_clause 0x1
	global_load_b64 v[18:19], v3, s[16:17] offset:40
	global_load_b64 v[22:23], v3, s[16:17]
	v_mov_b64_e32 v[20:21], v[14:15]
	s_wait_loadcnt 0x1
	s_delay_alu instid0(VALU_DEP_1) | instskip(SKIP_1) | instid1(VALU_DEP_1)
	v_and_b32_e32 v1, v18, v20
	s_wait_loadcnt 0x0
	v_mad_nc_u64_u32 v[14:15], v1, 24, v[22:23]
	s_delay_alu instid0(VALU_DEP_3) | instskip(NEXT) | instid1(VALU_DEP_1)
	v_and_b32_e32 v1, v19, v21
	v_mad_u32 v15, v1, 24, v15
	global_load_b64 v[18:19], v[14:15], off scope:SCOPE_SYS
	s_wait_xcnt 0x0
	s_wait_loadcnt 0x0
	global_atomic_cmpswap_b64 v[14:15], v3, v[18:21], s[16:17] offset:24 th:TH_ATOMIC_RETURN scope:SCOPE_SYS
	s_wait_loadcnt 0x0
	global_inv scope:SCOPE_SYS
	v_cmp_eq_u64_e32 vcc_lo, v[14:15], v[20:21]
	s_or_b32 s9, vcc_lo, s9
	s_wait_xcnt 0x0
	s_and_not1_b32 exec_lo, exec_lo, s9
	s_cbranch_execnz .LBB0_1086
; %bb.1087:                             ;   in Loop: Header=BB0_839 Depth=1
	s_or_b32 exec_lo, exec_lo, s9
.LBB0_1088:                             ;   in Loop: Header=BB0_839 Depth=1
	s_delay_alu instid0(SALU_CYCLE_1)
	s_or_b32 exec_lo, exec_lo, s8
.LBB0_1089:                             ;   in Loop: Header=BB0_839 Depth=1
	s_delay_alu instid0(SALU_CYCLE_1)
	s_or_b32 exec_lo, exec_lo, s1
	s_clause 0x1
	global_load_b64 v[18:19], v3, s[16:17] offset:40
	global_load_b128 v[20:23], v3, s[16:17]
	v_readfirstlane_b32 s8, v14
	v_readfirstlane_b32 s9, v15
	s_mov_b32 s1, exec_lo
	s_wait_loadcnt 0x1
	v_and_b32_e32 v14, s8, v18
	v_and_b32_e32 v15, s9, v19
	s_delay_alu instid0(VALU_DEP_1) | instskip(SKIP_1) | instid1(VALU_DEP_1)
	v_mul_u64_e32 v[18:19], 24, v[14:15]
	s_wait_loadcnt 0x0
	v_add_nc_u64_e32 v[24:25], v[20:21], v[18:19]
	s_wait_xcnt 0x0
	s_and_saveexec_b32 s10, s0
	s_cbranch_execz .LBB0_1091
; %bb.1090:                             ;   in Loop: Header=BB0_839 Depth=1
	v_mov_b32_e32 v2, s1
	global_store_b128 v[24:25], v[2:5], off offset:8
.LBB0_1091:                             ;   in Loop: Header=BB0_839 Depth=1
	s_wait_xcnt 0x0
	s_or_b32 exec_lo, exec_lo, s10
	v_lshlrev_b64_e32 v[14:15], 12, v[14:15]
	s_ashr_i32 s1, s29, 1
	v_mov_b64_e32 v[28:29], s[6:7]
	v_mov_b64_e32 v[26:27], s[4:5]
	v_and_or_b32 v16, 0xffffff1d, v16, 34
	v_dual_mov_b32 v19, v3 :: v_dual_mov_b32 v18, s1
	v_add_nc_u64_e32 v[14:15], v[22:23], v[14:15]
	s_delay_alu instid0(VALU_DEP_1) | instskip(NEXT) | instid1(VALU_DEP_2)
	v_readfirstlane_b32 s10, v14
	v_readfirstlane_b32 s11, v15
	s_clause 0x3
	global_store_b128 v0, v[16:19], s[10:11]
	global_store_b128 v0, v[26:29], s[10:11] offset:16
	global_store_b128 v0, v[26:29], s[10:11] offset:32
	;; [unrolled: 1-line block ×3, first 2 shown]
	s_wait_xcnt 0x0
	s_and_saveexec_b32 s1, s0
	s_cbranch_execz .LBB0_1099
; %bb.1092:                             ;   in Loop: Header=BB0_839 Depth=1
	s_clause 0x1
	global_load_b64 v[22:23], v3, s[16:17] offset:32 scope:SCOPE_SYS
	global_load_b64 v[14:15], v3, s[16:17] offset:40
	s_mov_b32 s10, exec_lo
	s_wait_loadcnt 0x0
	v_and_b32_e32 v14, s8, v14
	v_and_b32_e32 v15, s9, v15
	s_delay_alu instid0(VALU_DEP_1) | instskip(NEXT) | instid1(VALU_DEP_1)
	v_mul_u64_e32 v[14:15], 24, v[14:15]
	v_add_nc_u64_e32 v[18:19], v[20:21], v[14:15]
	v_dual_mov_b32 v20, s8 :: v_dual_mov_b32 v21, s9
	global_store_b64 v[18:19], v[22:23], off
	global_wb scope:SCOPE_SYS
	s_wait_storecnt 0x0
	s_wait_xcnt 0x0
	global_atomic_cmpswap_b64 v[16:17], v3, v[20:23], s[16:17] offset:32 th:TH_ATOMIC_RETURN scope:SCOPE_SYS
	s_wait_loadcnt 0x0
	v_cmpx_ne_u64_e64 v[16:17], v[22:23]
	s_cbranch_execz .LBB0_1095
; %bb.1093:                             ;   in Loop: Header=BB0_839 Depth=1
	s_mov_b32 s11, 0
.LBB0_1094:                             ;   Parent Loop BB0_839 Depth=1
                                        ; =>  This Inner Loop Header: Depth=2
	v_dual_mov_b32 v14, s8 :: v_dual_mov_b32 v15, s9
	s_sleep 1
	global_store_b64 v[18:19], v[16:17], off
	global_wb scope:SCOPE_SYS
	s_wait_storecnt 0x0
	s_wait_xcnt 0x0
	global_atomic_cmpswap_b64 v[14:15], v3, v[14:17], s[16:17] offset:32 th:TH_ATOMIC_RETURN scope:SCOPE_SYS
	s_wait_loadcnt 0x0
	v_cmp_eq_u64_e32 vcc_lo, v[14:15], v[16:17]
	v_mov_b64_e32 v[16:17], v[14:15]
	s_or_b32 s11, vcc_lo, s11
	s_delay_alu instid0(SALU_CYCLE_1)
	s_and_not1_b32 exec_lo, exec_lo, s11
	s_cbranch_execnz .LBB0_1094
.LBB0_1095:                             ;   in Loop: Header=BB0_839 Depth=1
	s_or_b32 exec_lo, exec_lo, s10
	global_load_b64 v[14:15], v3, s[16:17] offset:16
	s_mov_b32 s11, exec_lo
	s_mov_b32 s10, exec_lo
	v_mbcnt_lo_u32_b32 v1, s11, 0
	s_wait_xcnt 0x0
	s_delay_alu instid0(VALU_DEP_1)
	v_cmpx_eq_u32_e32 0, v1
	s_cbranch_execz .LBB0_1097
; %bb.1096:                             ;   in Loop: Header=BB0_839 Depth=1
	s_bcnt1_i32_b32 s11, s11
	s_delay_alu instid0(SALU_CYCLE_1)
	v_mov_b32_e32 v2, s11
	global_wb scope:SCOPE_SYS
	s_wait_loadcnt 0x0
	s_wait_storecnt 0x0
	global_atomic_add_u64 v[14:15], v[2:3], off offset:8 scope:SCOPE_SYS
.LBB0_1097:                             ;   in Loop: Header=BB0_839 Depth=1
	s_wait_xcnt 0x0
	s_or_b32 exec_lo, exec_lo, s10
	s_wait_loadcnt 0x0
	global_load_b64 v[16:17], v[14:15], off offset:16
	s_wait_loadcnt 0x0
	v_cmp_eq_u64_e32 vcc_lo, 0, v[16:17]
	s_cbranch_vccnz .LBB0_1099
; %bb.1098:                             ;   in Loop: Header=BB0_839 Depth=1
	global_load_b32 v2, v[14:15], off offset:24
	s_wait_loadcnt 0x0
	v_readfirstlane_b32 s10, v2
	global_wb scope:SCOPE_SYS
	s_wait_storecnt 0x0
	s_wait_xcnt 0x0
	global_store_b64 v[16:17], v[2:3], off scope:SCOPE_SYS
	s_and_b32 m0, s10, 0xffffff
	s_sendmsg sendmsg(MSG_INTERRUPT)
.LBB0_1099:                             ;   in Loop: Header=BB0_839 Depth=1
	s_wait_xcnt 0x0
	s_or_b32 exec_lo, exec_lo, s1
	s_branch .LBB0_1103
.LBB0_1100:                             ;   in Loop: Header=BB0_1103 Depth=2
	s_wait_xcnt 0x0
	s_or_b32 exec_lo, exec_lo, s1
	s_delay_alu instid0(VALU_DEP_1)
	v_readfirstlane_b32 s1, v1
	s_cmp_eq_u32 s1, 0
	s_cbranch_scc1 .LBB0_1102
; %bb.1101:                             ;   in Loop: Header=BB0_1103 Depth=2
	s_sleep 1
	s_cbranch_execnz .LBB0_1103
	s_branch .LBB0_1105
.LBB0_1102:                             ;   in Loop: Header=BB0_839 Depth=1
	s_branch .LBB0_1105
.LBB0_1103:                             ;   Parent Loop BB0_839 Depth=1
                                        ; =>  This Inner Loop Header: Depth=2
	v_mov_b32_e32 v1, 1
	s_and_saveexec_b32 s1, s0
	s_cbranch_execz .LBB0_1100
; %bb.1104:                             ;   in Loop: Header=BB0_1103 Depth=2
	global_load_b32 v1, v[24:25], off offset:20 scope:SCOPE_SYS
	s_wait_loadcnt 0x0
	global_inv scope:SCOPE_SYS
	v_and_b32_e32 v1, 1, v1
	s_branch .LBB0_1100
.LBB0_1105:                             ;   in Loop: Header=BB0_839 Depth=1
	s_and_saveexec_b32 s10, s0
	s_cbranch_execz .LBB0_838
; %bb.1106:                             ;   in Loop: Header=BB0_839 Depth=1
	s_clause 0x2
	global_load_b64 v[14:15], v3, s[16:17] offset:40
	global_load_b64 v[22:23], v3, s[16:17] offset:24 scope:SCOPE_SYS
	global_load_b64 v[16:17], v3, s[16:17]
	s_wait_loadcnt 0x2
	v_readfirstlane_b32 s14, v14
	v_readfirstlane_b32 s15, v15
	s_add_nc_u64 s[0:1], s[14:15], 1
	s_delay_alu instid0(SALU_CYCLE_1) | instskip(NEXT) | instid1(SALU_CYCLE_1)
	s_add_nc_u64 s[8:9], s[0:1], s[8:9]
	s_cmp_eq_u64 s[8:9], 0
	s_cselect_b32 s1, s1, s9
	s_cselect_b32 s0, s0, s8
	s_delay_alu instid0(SALU_CYCLE_1) | instskip(SKIP_1) | instid1(SALU_CYCLE_1)
	v_dual_mov_b32 v21, s1 :: v_dual_mov_b32 v20, s0
	s_and_b64 s[8:9], s[0:1], s[14:15]
	s_mul_u64 s[8:9], s[8:9], 24
	s_wait_loadcnt 0x0
	v_add_nc_u64_e32 v[18:19], s[8:9], v[16:17]
	global_store_b64 v[18:19], v[22:23], off
	global_wb scope:SCOPE_SYS
	s_wait_storecnt 0x0
	s_wait_xcnt 0x0
	global_atomic_cmpswap_b64 v[16:17], v3, v[20:23], s[16:17] offset:24 th:TH_ATOMIC_RETURN scope:SCOPE_SYS
	s_wait_loadcnt 0x0
	v_cmp_ne_u64_e32 vcc_lo, v[16:17], v[22:23]
	s_and_b32 exec_lo, exec_lo, vcc_lo
	s_cbranch_execz .LBB0_838
; %bb.1107:                             ;   in Loop: Header=BB0_839 Depth=1
	s_mov_b32 s8, 0
.LBB0_1108:                             ;   Parent Loop BB0_839 Depth=1
                                        ; =>  This Inner Loop Header: Depth=2
	v_dual_mov_b32 v14, s0 :: v_dual_mov_b32 v15, s1
	s_sleep 1
	global_store_b64 v[18:19], v[16:17], off
	global_wb scope:SCOPE_SYS
	s_wait_storecnt 0x0
	s_wait_xcnt 0x0
	global_atomic_cmpswap_b64 v[14:15], v3, v[14:17], s[16:17] offset:24 th:TH_ATOMIC_RETURN scope:SCOPE_SYS
	s_wait_loadcnt 0x0
	v_cmp_eq_u64_e32 vcc_lo, v[14:15], v[16:17]
	v_mov_b64_e32 v[16:17], v[14:15]
	s_or_b32 s8, vcc_lo, s8
	s_delay_alu instid0(SALU_CYCLE_1)
	s_and_not1_b32 exec_lo, exec_lo, s8
	s_cbranch_execnz .LBB0_1108
	s_branch .LBB0_838
.LBB0_1109:
	s_endpgm
	.section	.rodata,"a",@progbits
	.p2align	6, 0x0
	.amdhsa_kernel _Z9printAIGAPKiS0_S0_iii
		.amdhsa_group_segment_fixed_size 0
		.amdhsa_private_segment_fixed_size 0
		.amdhsa_kernarg_size 296
		.amdhsa_user_sgpr_count 2
		.amdhsa_user_sgpr_dispatch_ptr 0
		.amdhsa_user_sgpr_queue_ptr 0
		.amdhsa_user_sgpr_kernarg_segment_ptr 1
		.amdhsa_user_sgpr_dispatch_id 0
		.amdhsa_user_sgpr_kernarg_preload_length 0
		.amdhsa_user_sgpr_kernarg_preload_offset 0
		.amdhsa_user_sgpr_private_segment_size 0
		.amdhsa_wavefront_size32 1
		.amdhsa_uses_dynamic_stack 0
		.amdhsa_enable_private_segment 0
		.amdhsa_system_sgpr_workgroup_id_x 1
		.amdhsa_system_sgpr_workgroup_id_y 0
		.amdhsa_system_sgpr_workgroup_id_z 0
		.amdhsa_system_sgpr_workgroup_info 0
		.amdhsa_system_vgpr_workitem_id 0
		.amdhsa_next_free_vgpr 47
		.amdhsa_next_free_sgpr 50
		.amdhsa_named_barrier_count 0
		.amdhsa_reserve_vcc 1
		.amdhsa_float_round_mode_32 0
		.amdhsa_float_round_mode_16_64 0
		.amdhsa_float_denorm_mode_32 3
		.amdhsa_float_denorm_mode_16_64 3
		.amdhsa_fp16_overflow 0
		.amdhsa_memory_ordered 1
		.amdhsa_forward_progress 1
		.amdhsa_inst_pref_size 255
		.amdhsa_round_robin_scheduling 0
		.amdhsa_exception_fp_ieee_invalid_op 0
		.amdhsa_exception_fp_denorm_src 0
		.amdhsa_exception_fp_ieee_div_zero 0
		.amdhsa_exception_fp_ieee_overflow 0
		.amdhsa_exception_fp_ieee_underflow 0
		.amdhsa_exception_fp_ieee_inexact 0
		.amdhsa_exception_int_div_zero 0
	.end_amdhsa_kernel
	.text
.Lfunc_end0:
	.size	_Z9printAIGAPKiS0_S0_iii, .Lfunc_end0-_Z9printAIGAPKiS0_S0_iii
                                        ; -- End function
	.set _Z9printAIGAPKiS0_S0_iii.num_vgpr, 47
	.set _Z9printAIGAPKiS0_S0_iii.num_agpr, 0
	.set _Z9printAIGAPKiS0_S0_iii.numbered_sgpr, 50
	.set _Z9printAIGAPKiS0_S0_iii.num_named_barrier, 0
	.set _Z9printAIGAPKiS0_S0_iii.private_seg_size, 0
	.set _Z9printAIGAPKiS0_S0_iii.uses_vcc, 1
	.set _Z9printAIGAPKiS0_S0_iii.uses_flat_scratch, 0
	.set _Z9printAIGAPKiS0_S0_iii.has_dyn_sized_stack, 0
	.set _Z9printAIGAPKiS0_S0_iii.has_recursion, 0
	.set _Z9printAIGAPKiS0_S0_iii.has_indirect_call, 0
	.section	.AMDGPU.csdata,"",@progbits
; Kernel info:
; codeLenInByte = 44004
; TotalNumSgprs: 52
; NumVgprs: 47
; ScratchSize: 0
; MemoryBound: 0
; FloatMode: 240
; IeeeMode: 1
; LDSByteSize: 0 bytes/workgroup (compile time only)
; SGPRBlocks: 0
; VGPRBlocks: 2
; NumSGPRsForWavesPerEU: 52
; NumVGPRsForWavesPerEU: 47
; NamedBarCnt: 0
; Occupancy: 16
; WaveLimiterHint : 1
; COMPUTE_PGM_RSRC2:SCRATCH_EN: 0
; COMPUTE_PGM_RSRC2:USER_SGPR: 2
; COMPUTE_PGM_RSRC2:TRAP_HANDLER: 0
; COMPUTE_PGM_RSRC2:TGID_X_EN: 1
; COMPUTE_PGM_RSRC2:TGID_Y_EN: 0
; COMPUTE_PGM_RSRC2:TGID_Z_EN: 0
; COMPUTE_PGM_RSRC2:TIDIG_COMP_CNT: 0
	.text
	.p2align	2                               ; -- Begin function __ockl_printf_append_string_n
	.type	__ockl_printf_append_string_n,@function
__ockl_printf_append_string_n:          ; @__ockl_printf_append_string_n
; %bb.0:
	s_wait_loadcnt_dscnt 0x0
	s_wait_kmcnt 0x0
	v_dual_mov_b32 v9, v3 :: v_dual_mov_b32 v8, v2
	v_or_b32_e32 v2, 2, v0
	v_cmp_eq_u32_e64 s0, 0, v6
	v_mbcnt_lo_u32_b32 v30, -1, 0
	s_mov_b32 s7, 0
	v_cndmask_b32_e64 v14, v2, v0, s0
	s_mov_b32 s0, exec_lo
	v_cmpx_ne_u64_e32 0, v[8:9]
	s_xor_b32 s6, exec_lo, s0
	s_cbranch_execz .LBB1_86
; %bb.1:
	s_load_b64 s[2:3], s[8:9], 0x50
	v_mov_b64_e32 v[12:13], 0x100000002
	v_dual_mov_b32 v11, 0 :: v_dual_bitop2_b32 v6, 2, v14 bitop3:0x40
	v_and_b32_e32 v0, -3, v14
	s_mov_b32 s10, 0
	s_branch .LBB1_3
.LBB1_2:                                ;   in Loop: Header=BB1_3 Depth=1
	s_or_b32 exec_lo, exec_lo, s11
	v_sub_nc_u64_e32 v[4:5], v[4:5], v[32:33]
	v_add_nc_u64_e32 v[8:9], v[8:9], v[32:33]
	s_delay_alu instid0(VALU_DEP_2) | instskip(SKIP_1) | instid1(SALU_CYCLE_1)
	v_cmp_eq_u64_e32 vcc_lo, 0, v[4:5]
	s_or_b32 s10, vcc_lo, s10
	s_and_not1_b32 exec_lo, exec_lo, s10
	s_cbranch_execz .LBB1_85
.LBB1_3:                                ; =>This Loop Header: Depth=1
                                        ;     Child Loop BB1_6 Depth 2
                                        ;     Child Loop BB1_14 Depth 2
	;; [unrolled: 1-line block ×11, first 2 shown]
	v_min_u64 v[32:33], v[4:5], 56
	s_delay_alu instid0(VALU_DEP_3)
	v_add_nc_u64_e32 v[16:17], 8, v[8:9]
	s_mov_b32 s0, exec_lo
	v_cmpx_gt_u64_e32 8, v[4:5]
	s_xor_b32 s4, exec_lo, s0
	s_cbranch_execz .LBB1_9
; %bb.4:                                ;   in Loop: Header=BB1_3 Depth=1
	v_mov_b64_e32 v[2:3], 0
	s_mov_b32 s5, exec_lo
	v_cmpx_ne_u64_e32 0, v[4:5]
	s_cbranch_execz .LBB1_8
; %bb.5:                                ;   in Loop: Header=BB1_3 Depth=1
	v_mov_b64_e32 v[2:3], 0
	v_mov_b64_e32 v[14:15], v[8:9]
	v_lshlrev_b32_e32 v10, 3, v32
	s_mov_b64 s[0:1], 0
	s_mov_b32 s11, 0
.LBB1_6:                                ;   Parent Loop BB1_3 Depth=1
                                        ; =>  This Inner Loop Header: Depth=2
	global_load_u8 v7, v[14:15], off
	v_mov_b32_e32 v17, s7
	s_wait_xcnt 0x0
	v_add_nc_u64_e32 v[14:15], 1, v[14:15]
	s_wait_loadcnt 0x0
	v_and_b32_e32 v16, 0xffff, v7
	s_delay_alu instid0(VALU_DEP_1) | instskip(SKIP_1) | instid1(SALU_CYCLE_1)
	v_lshlrev_b64_e32 v[16:17], s0, v[16:17]
	s_add_nc_u64 s[0:1], s[0:1], 8
	v_cmp_eq_u32_e32 vcc_lo, s0, v10
	s_delay_alu instid0(VALU_DEP_2) | instskip(NEXT) | instid1(VALU_DEP_3)
	v_or_b32_e32 v3, v17, v3
	v_or_b32_e32 v2, v16, v2
	s_or_b32 s11, vcc_lo, s11
	s_delay_alu instid0(SALU_CYCLE_1)
	s_and_not1_b32 exec_lo, exec_lo, s11
	s_cbranch_execnz .LBB1_6
; %bb.7:                                ;   in Loop: Header=BB1_3 Depth=1
	s_or_b32 exec_lo, exec_lo, s11
.LBB1_8:                                ;   in Loop: Header=BB1_3 Depth=1
	s_delay_alu instid0(SALU_CYCLE_1)
	s_or_b32 exec_lo, exec_lo, s5
	v_mov_b64_e32 v[16:17], v[8:9]
.LBB1_9:                                ;   in Loop: Header=BB1_3 Depth=1
	s_or_saveexec_b32 s0, s4
	v_mov_b32_e32 v7, 0
	s_xor_b32 exec_lo, exec_lo, s0
	s_cbranch_execz .LBB1_11
; %bb.10:                               ;   in Loop: Header=BB1_3 Depth=1
	global_load_b64 v[2:3], v[8:9], off
	v_add_nc_u32_e32 v7, -8, v32
.LBB1_11:                               ;   in Loop: Header=BB1_3 Depth=1
	s_wait_xcnt 0x0
	s_or_b32 exec_lo, exec_lo, s0
	v_add_nc_u64_e32 v[18:19], 8, v[16:17]
                                        ; implicit-def: $vgpr14_vgpr15
	s_mov_b32 s0, exec_lo
	v_cmpx_gt_u32_e32 8, v7
	s_xor_b32 s11, exec_lo, s0
	s_cbranch_execz .LBB1_17
; %bb.12:                               ;   in Loop: Header=BB1_3 Depth=1
	v_mov_b64_e32 v[14:15], 0
	s_mov_b32 s12, exec_lo
	v_cmpx_ne_u32_e32 0, v7
	s_cbranch_execz .LBB1_16
; %bb.13:                               ;   in Loop: Header=BB1_3 Depth=1
	v_mov_b64_e32 v[14:15], 0
	s_mov_b64 s[0:1], 0
	s_mov_b32 s13, 0
	s_mov_b64 s[4:5], 0
.LBB1_14:                               ;   Parent Loop BB1_3 Depth=1
                                        ; =>  This Inner Loop Header: Depth=2
	s_delay_alu instid0(SALU_CYCLE_1) | instskip(SKIP_1) | instid1(SALU_CYCLE_1)
	v_add_nc_u64_e32 v[18:19], s[4:5], v[16:17]
	s_add_nc_u64 s[4:5], s[4:5], 1
	v_cmp_eq_u32_e32 vcc_lo, s4, v7
	global_load_u8 v10, v[18:19], off
	s_wait_xcnt 0x0
	v_mov_b32_e32 v19, s7
	s_or_b32 s13, vcc_lo, s13
	s_wait_loadcnt 0x0
	v_and_b32_e32 v18, 0xffff, v10
	s_delay_alu instid0(VALU_DEP_1) | instskip(SKIP_1) | instid1(VALU_DEP_1)
	v_lshlrev_b64_e32 v[18:19], s0, v[18:19]
	s_add_nc_u64 s[0:1], s[0:1], 8
	v_or_b32_e32 v15, v19, v15
	s_delay_alu instid0(VALU_DEP_2)
	v_or_b32_e32 v14, v18, v14
	s_and_not1_b32 exec_lo, exec_lo, s13
	s_cbranch_execnz .LBB1_14
; %bb.15:                               ;   in Loop: Header=BB1_3 Depth=1
	s_or_b32 exec_lo, exec_lo, s13
.LBB1_16:                               ;   in Loop: Header=BB1_3 Depth=1
	s_delay_alu instid0(SALU_CYCLE_1)
	s_or_b32 exec_lo, exec_lo, s12
	v_mov_b64_e32 v[18:19], v[16:17]
                                        ; implicit-def: $vgpr7
.LBB1_17:                               ;   in Loop: Header=BB1_3 Depth=1
	s_or_saveexec_b32 s0, s11
	v_mov_b32_e32 v10, 0
	s_xor_b32 exec_lo, exec_lo, s0
	s_cbranch_execz .LBB1_19
; %bb.18:                               ;   in Loop: Header=BB1_3 Depth=1
	global_load_b64 v[14:15], v[16:17], off
	v_add_nc_u32_e32 v10, -8, v7
.LBB1_19:                               ;   in Loop: Header=BB1_3 Depth=1
	s_wait_xcnt 0x0
	s_or_b32 exec_lo, exec_lo, s0
	v_add_nc_u64_e32 v[20:21], 8, v[18:19]
	s_mov_b32 s0, exec_lo
	v_cmpx_gt_u32_e32 8, v10
	s_xor_b32 s11, exec_lo, s0
	s_cbranch_execz .LBB1_25
; %bb.20:                               ;   in Loop: Header=BB1_3 Depth=1
	v_mov_b64_e32 v[16:17], 0
	s_mov_b32 s12, exec_lo
	v_cmpx_ne_u32_e32 0, v10
	s_cbranch_execz .LBB1_24
; %bb.21:                               ;   in Loop: Header=BB1_3 Depth=1
	v_mov_b64_e32 v[16:17], 0
	s_mov_b64 s[0:1], 0
	s_mov_b32 s13, 0
	s_mov_b64 s[4:5], 0
.LBB1_22:                               ;   Parent Loop BB1_3 Depth=1
                                        ; =>  This Inner Loop Header: Depth=2
	s_delay_alu instid0(SALU_CYCLE_1) | instskip(SKIP_1) | instid1(SALU_CYCLE_1)
	v_add_nc_u64_e32 v[20:21], s[4:5], v[18:19]
	s_add_nc_u64 s[4:5], s[4:5], 1
	v_cmp_eq_u32_e32 vcc_lo, s4, v10
	global_load_u8 v7, v[20:21], off
	s_wait_xcnt 0x0
	v_mov_b32_e32 v21, s7
	s_or_b32 s13, vcc_lo, s13
	s_wait_loadcnt 0x0
	v_and_b32_e32 v20, 0xffff, v7
	s_delay_alu instid0(VALU_DEP_1) | instskip(SKIP_1) | instid1(VALU_DEP_1)
	v_lshlrev_b64_e32 v[20:21], s0, v[20:21]
	s_add_nc_u64 s[0:1], s[0:1], 8
	v_or_b32_e32 v17, v21, v17
	s_delay_alu instid0(VALU_DEP_2)
	v_or_b32_e32 v16, v20, v16
	s_and_not1_b32 exec_lo, exec_lo, s13
	s_cbranch_execnz .LBB1_22
; %bb.23:                               ;   in Loop: Header=BB1_3 Depth=1
	s_or_b32 exec_lo, exec_lo, s13
.LBB1_24:                               ;   in Loop: Header=BB1_3 Depth=1
	s_delay_alu instid0(SALU_CYCLE_1)
	s_or_b32 exec_lo, exec_lo, s12
	v_mov_b64_e32 v[20:21], v[18:19]
                                        ; implicit-def: $vgpr10
.LBB1_25:                               ;   in Loop: Header=BB1_3 Depth=1
	s_or_saveexec_b32 s0, s11
	v_mov_b32_e32 v7, 0
	s_xor_b32 exec_lo, exec_lo, s0
	s_cbranch_execz .LBB1_27
; %bb.26:                               ;   in Loop: Header=BB1_3 Depth=1
	global_load_b64 v[16:17], v[18:19], off
	v_add_nc_u32_e32 v7, -8, v10
.LBB1_27:                               ;   in Loop: Header=BB1_3 Depth=1
	s_wait_xcnt 0x0
	s_or_b32 exec_lo, exec_lo, s0
	v_add_nc_u64_e32 v[22:23], 8, v[20:21]
                                        ; implicit-def: $vgpr18_vgpr19
	s_mov_b32 s0, exec_lo
	v_cmpx_gt_u32_e32 8, v7
	s_xor_b32 s11, exec_lo, s0
	s_cbranch_execz .LBB1_33
; %bb.28:                               ;   in Loop: Header=BB1_3 Depth=1
	v_mov_b64_e32 v[18:19], 0
	s_mov_b32 s12, exec_lo
	v_cmpx_ne_u32_e32 0, v7
	s_cbranch_execz .LBB1_32
; %bb.29:                               ;   in Loop: Header=BB1_3 Depth=1
	v_mov_b64_e32 v[18:19], 0
	s_mov_b64 s[0:1], 0
	s_mov_b32 s13, 0
	s_mov_b64 s[4:5], 0
.LBB1_30:                               ;   Parent Loop BB1_3 Depth=1
                                        ; =>  This Inner Loop Header: Depth=2
	s_delay_alu instid0(SALU_CYCLE_1) | instskip(SKIP_1) | instid1(SALU_CYCLE_1)
	v_add_nc_u64_e32 v[22:23], s[4:5], v[20:21]
	s_add_nc_u64 s[4:5], s[4:5], 1
	v_cmp_eq_u32_e32 vcc_lo, s4, v7
	global_load_u8 v10, v[22:23], off
	s_wait_xcnt 0x0
	v_mov_b32_e32 v23, s7
	s_or_b32 s13, vcc_lo, s13
	s_wait_loadcnt 0x0
	v_and_b32_e32 v22, 0xffff, v10
	s_delay_alu instid0(VALU_DEP_1) | instskip(SKIP_1) | instid1(VALU_DEP_1)
	v_lshlrev_b64_e32 v[22:23], s0, v[22:23]
	s_add_nc_u64 s[0:1], s[0:1], 8
	v_or_b32_e32 v19, v23, v19
	s_delay_alu instid0(VALU_DEP_2)
	v_or_b32_e32 v18, v22, v18
	s_and_not1_b32 exec_lo, exec_lo, s13
	s_cbranch_execnz .LBB1_30
; %bb.31:                               ;   in Loop: Header=BB1_3 Depth=1
	s_or_b32 exec_lo, exec_lo, s13
.LBB1_32:                               ;   in Loop: Header=BB1_3 Depth=1
	s_delay_alu instid0(SALU_CYCLE_1)
	s_or_b32 exec_lo, exec_lo, s12
	v_mov_b64_e32 v[22:23], v[20:21]
                                        ; implicit-def: $vgpr7
.LBB1_33:                               ;   in Loop: Header=BB1_3 Depth=1
	s_or_saveexec_b32 s0, s11
	v_mov_b32_e32 v10, 0
	s_xor_b32 exec_lo, exec_lo, s0
	s_cbranch_execz .LBB1_35
; %bb.34:                               ;   in Loop: Header=BB1_3 Depth=1
	global_load_b64 v[18:19], v[20:21], off
	v_add_nc_u32_e32 v10, -8, v7
.LBB1_35:                               ;   in Loop: Header=BB1_3 Depth=1
	s_wait_xcnt 0x0
	s_or_b32 exec_lo, exec_lo, s0
	v_add_nc_u64_e32 v[24:25], 8, v[22:23]
	s_mov_b32 s0, exec_lo
	v_cmpx_gt_u32_e32 8, v10
	s_xor_b32 s11, exec_lo, s0
	s_cbranch_execz .LBB1_41
; %bb.36:                               ;   in Loop: Header=BB1_3 Depth=1
	v_mov_b64_e32 v[20:21], 0
	s_mov_b32 s12, exec_lo
	v_cmpx_ne_u32_e32 0, v10
	s_cbranch_execz .LBB1_40
; %bb.37:                               ;   in Loop: Header=BB1_3 Depth=1
	v_mov_b64_e32 v[20:21], 0
	s_mov_b64 s[0:1], 0
	s_mov_b32 s13, 0
	s_mov_b64 s[4:5], 0
.LBB1_38:                               ;   Parent Loop BB1_3 Depth=1
                                        ; =>  This Inner Loop Header: Depth=2
	s_delay_alu instid0(SALU_CYCLE_1) | instskip(SKIP_1) | instid1(SALU_CYCLE_1)
	v_add_nc_u64_e32 v[24:25], s[4:5], v[22:23]
	s_add_nc_u64 s[4:5], s[4:5], 1
	v_cmp_eq_u32_e32 vcc_lo, s4, v10
	global_load_u8 v7, v[24:25], off
	s_wait_xcnt 0x0
	v_mov_b32_e32 v25, s7
	s_or_b32 s13, vcc_lo, s13
	s_wait_loadcnt 0x0
	v_and_b32_e32 v24, 0xffff, v7
	s_delay_alu instid0(VALU_DEP_1) | instskip(SKIP_1) | instid1(VALU_DEP_1)
	v_lshlrev_b64_e32 v[24:25], s0, v[24:25]
	s_add_nc_u64 s[0:1], s[0:1], 8
	v_or_b32_e32 v21, v25, v21
	s_delay_alu instid0(VALU_DEP_2)
	v_or_b32_e32 v20, v24, v20
	s_and_not1_b32 exec_lo, exec_lo, s13
	s_cbranch_execnz .LBB1_38
; %bb.39:                               ;   in Loop: Header=BB1_3 Depth=1
	s_or_b32 exec_lo, exec_lo, s13
.LBB1_40:                               ;   in Loop: Header=BB1_3 Depth=1
	s_delay_alu instid0(SALU_CYCLE_1)
	s_or_b32 exec_lo, exec_lo, s12
	v_mov_b64_e32 v[24:25], v[22:23]
                                        ; implicit-def: $vgpr10
.LBB1_41:                               ;   in Loop: Header=BB1_3 Depth=1
	s_or_saveexec_b32 s0, s11
	v_mov_b32_e32 v7, 0
	s_xor_b32 exec_lo, exec_lo, s0
	s_cbranch_execz .LBB1_43
; %bb.42:                               ;   in Loop: Header=BB1_3 Depth=1
	global_load_b64 v[20:21], v[22:23], off
	v_add_nc_u32_e32 v7, -8, v10
.LBB1_43:                               ;   in Loop: Header=BB1_3 Depth=1
	s_wait_xcnt 0x0
	s_or_b32 exec_lo, exec_lo, s0
	v_add_nc_u64_e32 v[26:27], 8, v[24:25]
                                        ; implicit-def: $vgpr22_vgpr23
	s_mov_b32 s0, exec_lo
	v_cmpx_gt_u32_e32 8, v7
	s_xor_b32 s11, exec_lo, s0
	s_cbranch_execz .LBB1_49
; %bb.44:                               ;   in Loop: Header=BB1_3 Depth=1
	v_mov_b64_e32 v[22:23], 0
	s_mov_b32 s12, exec_lo
	v_cmpx_ne_u32_e32 0, v7
	s_cbranch_execz .LBB1_48
; %bb.45:                               ;   in Loop: Header=BB1_3 Depth=1
	v_mov_b64_e32 v[22:23], 0
	s_mov_b64 s[0:1], 0
	s_mov_b32 s13, 0
	s_mov_b64 s[4:5], 0
.LBB1_46:                               ;   Parent Loop BB1_3 Depth=1
                                        ; =>  This Inner Loop Header: Depth=2
	s_delay_alu instid0(SALU_CYCLE_1) | instskip(SKIP_1) | instid1(SALU_CYCLE_1)
	v_add_nc_u64_e32 v[26:27], s[4:5], v[24:25]
	s_add_nc_u64 s[4:5], s[4:5], 1
	v_cmp_eq_u32_e32 vcc_lo, s4, v7
	global_load_u8 v10, v[26:27], off
	s_wait_xcnt 0x0
	v_mov_b32_e32 v27, s7
	s_or_b32 s13, vcc_lo, s13
	s_wait_loadcnt 0x0
	v_and_b32_e32 v26, 0xffff, v10
	s_delay_alu instid0(VALU_DEP_1) | instskip(SKIP_1) | instid1(VALU_DEP_1)
	v_lshlrev_b64_e32 v[26:27], s0, v[26:27]
	s_add_nc_u64 s[0:1], s[0:1], 8
	v_or_b32_e32 v23, v27, v23
	s_delay_alu instid0(VALU_DEP_2)
	v_or_b32_e32 v22, v26, v22
	s_and_not1_b32 exec_lo, exec_lo, s13
	s_cbranch_execnz .LBB1_46
; %bb.47:                               ;   in Loop: Header=BB1_3 Depth=1
	s_or_b32 exec_lo, exec_lo, s13
.LBB1_48:                               ;   in Loop: Header=BB1_3 Depth=1
	s_delay_alu instid0(SALU_CYCLE_1)
	s_or_b32 exec_lo, exec_lo, s12
	v_mov_b64_e32 v[26:27], v[24:25]
                                        ; implicit-def: $vgpr7
.LBB1_49:                               ;   in Loop: Header=BB1_3 Depth=1
	s_or_saveexec_b32 s0, s11
	v_mov_b32_e32 v10, 0
	s_xor_b32 exec_lo, exec_lo, s0
	s_cbranch_execz .LBB1_51
; %bb.50:                               ;   in Loop: Header=BB1_3 Depth=1
	global_load_b64 v[22:23], v[24:25], off
	v_add_nc_u32_e32 v10, -8, v7
.LBB1_51:                               ;   in Loop: Header=BB1_3 Depth=1
	s_wait_xcnt 0x0
	s_or_b32 exec_lo, exec_lo, s0
	s_delay_alu instid0(SALU_CYCLE_1) | instskip(NEXT) | instid1(VALU_DEP_1)
	s_mov_b32 s0, exec_lo
	v_cmpx_gt_u32_e32 8, v10
	s_xor_b32 s4, exec_lo, s0
	s_cbranch_execz .LBB1_57
; %bb.52:                               ;   in Loop: Header=BB1_3 Depth=1
	v_mov_b64_e32 v[24:25], 0
	s_mov_b32 s5, exec_lo
	v_cmpx_ne_u32_e32 0, v10
	s_cbranch_execz .LBB1_56
; %bb.53:                               ;   in Loop: Header=BB1_3 Depth=1
	v_mov_b64_e32 v[24:25], 0
	s_mov_b64 s[0:1], 0
	s_mov_b32 s11, 0
.LBB1_54:                               ;   Parent Loop BB1_3 Depth=1
                                        ; =>  This Inner Loop Header: Depth=2
	global_load_u8 v7, v[26:27], off
	v_dual_mov_b32 v29, s7 :: v_dual_add_nc_u32 v10, -1, v10
	s_wait_xcnt 0x0
	v_add_nc_u64_e32 v[26:27], 1, v[26:27]
	s_delay_alu instid0(VALU_DEP_2) | instskip(SKIP_3) | instid1(VALU_DEP_1)
	v_cmp_eq_u32_e32 vcc_lo, 0, v10
	s_or_b32 s11, vcc_lo, s11
	s_wait_loadcnt 0x0
	v_and_b32_e32 v28, 0xffff, v7
	v_lshlrev_b64_e32 v[28:29], s0, v[28:29]
	s_add_nc_u64 s[0:1], s[0:1], 8
	s_delay_alu instid0(VALU_DEP_1) | instskip(NEXT) | instid1(VALU_DEP_2)
	v_or_b32_e32 v25, v29, v25
	v_or_b32_e32 v24, v28, v24
	s_and_not1_b32 exec_lo, exec_lo, s11
	s_cbranch_execnz .LBB1_54
; %bb.55:                               ;   in Loop: Header=BB1_3 Depth=1
	s_or_b32 exec_lo, exec_lo, s11
.LBB1_56:                               ;   in Loop: Header=BB1_3 Depth=1
	s_delay_alu instid0(SALU_CYCLE_1)
	s_or_b32 exec_lo, exec_lo, s5
                                        ; implicit-def: $vgpr26_vgpr27
.LBB1_57:                               ;   in Loop: Header=BB1_3 Depth=1
	s_and_not1_saveexec_b32 s0, s4
	s_cbranch_execz .LBB1_59
; %bb.58:                               ;   in Loop: Header=BB1_3 Depth=1
	global_load_b64 v[24:25], v[26:27], off
.LBB1_59:                               ;   in Loop: Header=BB1_3 Depth=1
	s_wait_xcnt 0x0
	s_or_b32 exec_lo, exec_lo, s0
	v_readfirstlane_b32 s0, v30
	v_mov_b64_e32 v[34:35], 0
	s_delay_alu instid0(VALU_DEP_2)
	v_cmp_eq_u32_e64 s0, s0, v30
	s_and_saveexec_b32 s1, s0
	s_cbranch_execz .LBB1_65
; %bb.60:                               ;   in Loop: Header=BB1_3 Depth=1
	s_wait_kmcnt 0x0
	global_load_b64 v[28:29], v11, s[2:3] offset:24 scope:SCOPE_SYS
	s_wait_loadcnt 0x0
	global_inv scope:SCOPE_SYS
	s_clause 0x1
	global_load_b64 v[26:27], v11, s[2:3] offset:40
	global_load_b64 v[34:35], v11, s[2:3]
	s_mov_b32 s4, exec_lo
	s_wait_loadcnt 0x1
	v_and_b32_e32 v26, v26, v28
	v_and_b32_e32 v27, v27, v29
	s_delay_alu instid0(VALU_DEP_1) | instskip(SKIP_1) | instid1(VALU_DEP_1)
	v_mul_u64_e32 v[26:27], 24, v[26:27]
	s_wait_loadcnt 0x0
	v_add_nc_u64_e32 v[26:27], v[34:35], v[26:27]
	global_load_b64 v[26:27], v[26:27], off scope:SCOPE_SYS
	s_wait_xcnt 0x0
	s_wait_loadcnt 0x0
	global_atomic_cmpswap_b64 v[34:35], v11, v[26:29], s[2:3] offset:24 th:TH_ATOMIC_RETURN scope:SCOPE_SYS
	s_wait_loadcnt 0x0
	global_inv scope:SCOPE_SYS
	s_wait_xcnt 0x0
	v_cmpx_ne_u64_e64 v[34:35], v[28:29]
	s_cbranch_execz .LBB1_64
; %bb.61:                               ;   in Loop: Header=BB1_3 Depth=1
	s_mov_b32 s5, 0
.LBB1_62:                               ;   Parent Loop BB1_3 Depth=1
                                        ; =>  This Inner Loop Header: Depth=2
	s_sleep 1
	s_clause 0x1
	global_load_b64 v[26:27], v11, s[2:3] offset:40
	global_load_b64 v[36:37], v11, s[2:3]
	v_mov_b64_e32 v[28:29], v[34:35]
	s_wait_loadcnt 0x1
	s_delay_alu instid0(VALU_DEP_1) | instskip(SKIP_1) | instid1(VALU_DEP_1)
	v_and_b32_e32 v7, v26, v28
	s_wait_loadcnt 0x0
	v_mad_nc_u64_u32 v[34:35], v7, 24, v[36:37]
	s_delay_alu instid0(VALU_DEP_3) | instskip(NEXT) | instid1(VALU_DEP_1)
	v_and_b32_e32 v7, v27, v29
	v_mad_u32 v35, v7, 24, v35
	global_load_b64 v[26:27], v[34:35], off scope:SCOPE_SYS
	s_wait_xcnt 0x0
	s_wait_loadcnt 0x0
	global_atomic_cmpswap_b64 v[34:35], v11, v[26:29], s[2:3] offset:24 th:TH_ATOMIC_RETURN scope:SCOPE_SYS
	s_wait_loadcnt 0x0
	global_inv scope:SCOPE_SYS
	v_cmp_eq_u64_e32 vcc_lo, v[34:35], v[28:29]
	s_or_b32 s5, vcc_lo, s5
	s_wait_xcnt 0x0
	s_and_not1_b32 exec_lo, exec_lo, s5
	s_cbranch_execnz .LBB1_62
; %bb.63:                               ;   in Loop: Header=BB1_3 Depth=1
	s_or_b32 exec_lo, exec_lo, s5
.LBB1_64:                               ;   in Loop: Header=BB1_3 Depth=1
	s_delay_alu instid0(SALU_CYCLE_1)
	s_or_b32 exec_lo, exec_lo, s4
.LBB1_65:                               ;   in Loop: Header=BB1_3 Depth=1
	s_delay_alu instid0(SALU_CYCLE_1)
	s_or_b32 exec_lo, exec_lo, s1
	s_wait_kmcnt 0x0
	s_clause 0x1
	global_load_b64 v[36:37], v11, s[2:3] offset:40
	global_load_b128 v[26:29], v11, s[2:3]
	v_readfirstlane_b32 s4, v34
	v_readfirstlane_b32 s5, v35
	s_mov_b32 s1, exec_lo
	s_wait_loadcnt 0x1
	v_and_b32_e32 v36, s4, v36
	v_and_b32_e32 v37, s5, v37
	s_delay_alu instid0(VALU_DEP_1) | instskip(SKIP_1) | instid1(VALU_DEP_1)
	v_mul_u64_e32 v[34:35], 24, v[36:37]
	s_wait_loadcnt 0x0
	v_add_nc_u64_e32 v[34:35], v[26:27], v[34:35]
	s_wait_xcnt 0x0
	s_and_saveexec_b32 s11, s0
	s_cbranch_execz .LBB1_67
; %bb.66:                               ;   in Loop: Header=BB1_3 Depth=1
	v_mov_b32_e32 v10, s1
	global_store_b128 v[34:35], v[10:13], off offset:8
.LBB1_67:                               ;   in Loop: Header=BB1_3 Depth=1
	s_wait_xcnt 0x0
	s_or_b32 exec_lo, exec_lo, s11
	v_cmp_gt_u64_e32 vcc_lo, 57, v[4:5]
	v_lshlrev_b64_e32 v[36:37], 12, v[36:37]
	v_and_b32_e32 v0, 0xffffff1f, v0
	v_lshl_add_u32 v31, v32, 2, 28
	v_lshlrev_b32_e32 v10, 6, v30
	v_cndmask_b32_e32 v7, 0, v6, vcc_lo
	v_add_nc_u64_e32 v[28:29], v[28:29], v[36:37]
	s_delay_alu instid0(VALU_DEP_2) | instskip(NEXT) | instid1(VALU_DEP_2)
	v_or_b32_e32 v0, v0, v7
	v_readfirstlane_b32 s12, v28
	s_delay_alu instid0(VALU_DEP_3) | instskip(NEXT) | instid1(VALU_DEP_3)
	v_readfirstlane_b32 s13, v29
	v_and_or_b32 v0, 0x1e0, v31, v0
	s_clause 0x3
	global_store_b128 v10, v[0:3], s[12:13]
	global_store_b128 v10, v[14:17], s[12:13] offset:16
	global_store_b128 v10, v[18:21], s[12:13] offset:32
	;; [unrolled: 1-line block ×3, first 2 shown]
	s_wait_xcnt 0x0
	s_and_saveexec_b32 s1, s0
	s_cbranch_execz .LBB1_75
; %bb.68:                               ;   in Loop: Header=BB1_3 Depth=1
	s_clause 0x1
	global_load_b64 v[18:19], v11, s[2:3] offset:32 scope:SCOPE_SYS
	global_load_b64 v[0:1], v11, s[2:3] offset:40
	s_mov_b32 s11, exec_lo
	v_dual_mov_b32 v16, s4 :: v_dual_mov_b32 v17, s5
	s_wait_loadcnt 0x0
	v_and_b32_e32 v1, s5, v1
	v_and_b32_e32 v0, s4, v0
	s_delay_alu instid0(VALU_DEP_1) | instskip(NEXT) | instid1(VALU_DEP_1)
	v_mul_u64_e32 v[0:1], 24, v[0:1]
	v_add_nc_u64_e32 v[14:15], v[26:27], v[0:1]
	global_store_b64 v[14:15], v[18:19], off
	global_wb scope:SCOPE_SYS
	s_wait_storecnt 0x0
	s_wait_xcnt 0x0
	global_atomic_cmpswap_b64 v[2:3], v11, v[16:19], s[2:3] offset:32 th:TH_ATOMIC_RETURN scope:SCOPE_SYS
	s_wait_loadcnt 0x0
	v_cmpx_ne_u64_e64 v[2:3], v[18:19]
	s_cbranch_execz .LBB1_71
; %bb.69:                               ;   in Loop: Header=BB1_3 Depth=1
	s_mov_b32 s12, 0
.LBB1_70:                               ;   Parent Loop BB1_3 Depth=1
                                        ; =>  This Inner Loop Header: Depth=2
	v_dual_mov_b32 v0, s4 :: v_dual_mov_b32 v1, s5
	s_sleep 1
	global_store_b64 v[14:15], v[2:3], off
	global_wb scope:SCOPE_SYS
	s_wait_storecnt 0x0
	s_wait_xcnt 0x0
	global_atomic_cmpswap_b64 v[0:1], v11, v[0:3], s[2:3] offset:32 th:TH_ATOMIC_RETURN scope:SCOPE_SYS
	s_wait_loadcnt 0x0
	v_cmp_eq_u64_e32 vcc_lo, v[0:1], v[2:3]
	v_mov_b64_e32 v[2:3], v[0:1]
	s_or_b32 s12, vcc_lo, s12
	s_delay_alu instid0(SALU_CYCLE_1)
	s_and_not1_b32 exec_lo, exec_lo, s12
	s_cbranch_execnz .LBB1_70
.LBB1_71:                               ;   in Loop: Header=BB1_3 Depth=1
	s_or_b32 exec_lo, exec_lo, s11
	global_load_b64 v[0:1], v11, s[2:3] offset:16
	s_mov_b32 s12, exec_lo
	s_mov_b32 s11, exec_lo
	v_mbcnt_lo_u32_b32 v2, s12, 0
	s_wait_xcnt 0x0
	s_delay_alu instid0(VALU_DEP_1)
	v_cmpx_eq_u32_e32 0, v2
	s_cbranch_execz .LBB1_73
; %bb.72:                               ;   in Loop: Header=BB1_3 Depth=1
	s_bcnt1_i32_b32 s12, s12
	s_delay_alu instid0(SALU_CYCLE_1)
	v_dual_mov_b32 v3, v11 :: v_dual_mov_b32 v2, s12
	global_wb scope:SCOPE_SYS
	s_wait_loadcnt 0x0
	s_wait_storecnt 0x0
	global_atomic_add_u64 v[0:1], v[2:3], off offset:8 scope:SCOPE_SYS
.LBB1_73:                               ;   in Loop: Header=BB1_3 Depth=1
	s_wait_xcnt 0x0
	s_or_b32 exec_lo, exec_lo, s11
	s_wait_loadcnt 0x0
	global_load_b64 v[2:3], v[0:1], off offset:16
	s_wait_loadcnt 0x0
	v_cmp_eq_u64_e32 vcc_lo, 0, v[2:3]
	s_cbranch_vccnz .LBB1_75
; %bb.74:                               ;   in Loop: Header=BB1_3 Depth=1
	global_load_b32 v0, v[0:1], off offset:24
	s_wait_xcnt 0x0
	v_mov_b32_e32 v1, v11
	s_wait_loadcnt 0x0
	v_readfirstlane_b32 s11, v0
	global_wb scope:SCOPE_SYS
	s_wait_storecnt 0x0
	global_store_b64 v[2:3], v[0:1], off scope:SCOPE_SYS
	s_and_b32 m0, s11, 0xffffff
	s_sendmsg sendmsg(MSG_INTERRUPT)
.LBB1_75:                               ;   in Loop: Header=BB1_3 Depth=1
	s_wait_xcnt 0x0
	s_or_b32 exec_lo, exec_lo, s1
	v_add_nc_u64_e32 v[0:1], v[28:29], v[10:11]
	s_branch .LBB1_79
.LBB1_76:                               ;   in Loop: Header=BB1_79 Depth=2
	s_wait_xcnt 0x0
	s_or_b32 exec_lo, exec_lo, s1
	s_delay_alu instid0(VALU_DEP_1)
	v_readfirstlane_b32 s1, v2
	s_cmp_eq_u32 s1, 0
	s_cbranch_scc1 .LBB1_78
; %bb.77:                               ;   in Loop: Header=BB1_79 Depth=2
	s_sleep 1
	s_cbranch_execnz .LBB1_79
	s_branch .LBB1_81
.LBB1_78:                               ;   in Loop: Header=BB1_3 Depth=1
	s_branch .LBB1_81
.LBB1_79:                               ;   Parent Loop BB1_3 Depth=1
                                        ; =>  This Inner Loop Header: Depth=2
	v_mov_b32_e32 v2, 1
	s_and_saveexec_b32 s1, s0
	s_cbranch_execz .LBB1_76
; %bb.80:                               ;   in Loop: Header=BB1_79 Depth=2
	global_load_b32 v2, v[34:35], off offset:20 scope:SCOPE_SYS
	s_wait_loadcnt 0x0
	global_inv scope:SCOPE_SYS
	v_and_b32_e32 v2, 1, v2
	s_branch .LBB1_76
.LBB1_81:                               ;   in Loop: Header=BB1_3 Depth=1
	global_load_b64 v[0:1], v[0:1], off
	s_wait_xcnt 0x0
	s_and_saveexec_b32 s11, s0
	s_cbranch_execz .LBB1_2
; %bb.82:                               ;   in Loop: Header=BB1_3 Depth=1
	s_clause 0x2
	global_load_b64 v[2:3], v11, s[2:3] offset:40
	global_load_b64 v[18:19], v11, s[2:3] offset:24 scope:SCOPE_SYS
	global_load_b64 v[14:15], v11, s[2:3]
	s_wait_loadcnt 0x2
	v_readfirstlane_b32 s12, v2
	v_readfirstlane_b32 s13, v3
	s_add_nc_u64 s[0:1], s[12:13], 1
	s_delay_alu instid0(SALU_CYCLE_1) | instskip(NEXT) | instid1(SALU_CYCLE_1)
	s_add_nc_u64 s[4:5], s[0:1], s[4:5]
	s_cmp_eq_u64 s[4:5], 0
	s_cselect_b32 s1, s1, s5
	s_cselect_b32 s0, s0, s4
	s_delay_alu instid0(SALU_CYCLE_1) | instskip(SKIP_1) | instid1(SALU_CYCLE_1)
	v_dual_mov_b32 v17, s1 :: v_dual_mov_b32 v16, s0
	s_and_b64 s[4:5], s[0:1], s[12:13]
	s_mul_u64 s[4:5], s[4:5], 24
	s_wait_loadcnt 0x0
	v_add_nc_u64_e32 v[2:3], s[4:5], v[14:15]
	global_store_b64 v[2:3], v[18:19], off
	global_wb scope:SCOPE_SYS
	s_wait_storecnt 0x0
	s_wait_xcnt 0x0
	global_atomic_cmpswap_b64 v[16:17], v11, v[16:19], s[2:3] offset:24 th:TH_ATOMIC_RETURN scope:SCOPE_SYS
	s_wait_loadcnt 0x0
	v_cmp_ne_u64_e32 vcc_lo, v[16:17], v[18:19]
	s_and_b32 exec_lo, exec_lo, vcc_lo
	s_cbranch_execz .LBB1_2
; %bb.83:                               ;   in Loop: Header=BB1_3 Depth=1
	s_mov_b32 s4, 0
.LBB1_84:                               ;   Parent Loop BB1_3 Depth=1
                                        ; =>  This Inner Loop Header: Depth=2
	v_dual_mov_b32 v14, s0 :: v_dual_mov_b32 v15, s1
	s_sleep 1
	global_store_b64 v[2:3], v[16:17], off
	global_wb scope:SCOPE_SYS
	s_wait_storecnt 0x0
	s_wait_xcnt 0x0
	global_atomic_cmpswap_b64 v[14:15], v11, v[14:17], s[2:3] offset:24 th:TH_ATOMIC_RETURN scope:SCOPE_SYS
	s_wait_loadcnt 0x0
	v_cmp_eq_u64_e32 vcc_lo, v[14:15], v[16:17]
	v_mov_b64_e32 v[16:17], v[14:15]
	s_or_b32 s4, vcc_lo, s4
	s_delay_alu instid0(SALU_CYCLE_1)
	s_and_not1_b32 exec_lo, exec_lo, s4
	s_cbranch_execnz .LBB1_84
	s_branch .LBB1_2
.LBB1_85:
	s_or_b32 exec_lo, exec_lo, s10
                                        ; implicit-def: $vgpr14
                                        ; implicit-def: $vgpr30
.LBB1_86:
	s_and_not1_saveexec_b32 s6, s6
	s_cbranch_execz .LBB1_108
; %bb.87:
	s_load_b64 s[2:3], s[8:9], 0x50
	v_readfirstlane_b32 s0, v30
	v_mov_b64_e32 v[2:3], 0
	s_delay_alu instid0(VALU_DEP_2)
	v_cmp_eq_u32_e64 s0, s0, v30
	s_and_saveexec_b32 s1, s0
	s_cbranch_execz .LBB1_93
; %bb.88:
	s_wait_loadcnt 0x0
	v_mov_b32_e32 v0, 0
	s_mov_b32 s4, exec_lo
	s_wait_kmcnt 0x0
	global_load_b64 v[4:5], v0, s[2:3] offset:24 scope:SCOPE_SYS
	s_wait_loadcnt 0x0
	global_inv scope:SCOPE_SYS
	s_clause 0x1
	global_load_b64 v[2:3], v0, s[2:3] offset:40
	global_load_b64 v[6:7], v0, s[2:3]
	s_wait_loadcnt 0x1
	v_and_b32_e32 v2, v2, v4
	v_and_b32_e32 v3, v3, v5
	s_delay_alu instid0(VALU_DEP_1) | instskip(SKIP_1) | instid1(VALU_DEP_1)
	v_mul_u64_e32 v[2:3], 24, v[2:3]
	s_wait_loadcnt 0x0
	v_add_nc_u64_e32 v[2:3], v[6:7], v[2:3]
	global_load_b64 v[2:3], v[2:3], off scope:SCOPE_SYS
	s_wait_xcnt 0x0
	s_wait_loadcnt 0x0
	global_atomic_cmpswap_b64 v[2:3], v0, v[2:5], s[2:3] offset:24 th:TH_ATOMIC_RETURN scope:SCOPE_SYS
	s_wait_loadcnt 0x0
	global_inv scope:SCOPE_SYS
	s_wait_xcnt 0x0
	v_cmpx_ne_u64_e64 v[2:3], v[4:5]
	s_cbranch_execz .LBB1_92
; %bb.89:
	s_mov_b32 s5, 0
.LBB1_90:                               ; =>This Inner Loop Header: Depth=1
	s_sleep 1
	s_clause 0x1
	global_load_b64 v[6:7], v0, s[2:3] offset:40
	global_load_b64 v[8:9], v0, s[2:3]
	v_mov_b64_e32 v[4:5], v[2:3]
	s_wait_loadcnt 0x1
	s_delay_alu instid0(VALU_DEP_1) | instskip(NEXT) | instid1(VALU_DEP_2)
	v_and_b32_e32 v2, v6, v4
	v_and_b32_e32 v6, v7, v5
	s_wait_loadcnt 0x0
	s_delay_alu instid0(VALU_DEP_2) | instskip(NEXT) | instid1(VALU_DEP_1)
	v_mad_nc_u64_u32 v[2:3], v2, 24, v[8:9]
	v_mad_u32 v3, v6, 24, v3
	global_load_b64 v[2:3], v[2:3], off scope:SCOPE_SYS
	s_wait_xcnt 0x0
	s_wait_loadcnt 0x0
	global_atomic_cmpswap_b64 v[2:3], v0, v[2:5], s[2:3] offset:24 th:TH_ATOMIC_RETURN scope:SCOPE_SYS
	s_wait_loadcnt 0x0
	global_inv scope:SCOPE_SYS
	v_cmp_eq_u64_e32 vcc_lo, v[2:3], v[4:5]
	s_or_b32 s5, vcc_lo, s5
	s_wait_xcnt 0x0
	s_and_not1_b32 exec_lo, exec_lo, s5
	s_cbranch_execnz .LBB1_90
; %bb.91:
	s_or_b32 exec_lo, exec_lo, s5
.LBB1_92:
	s_delay_alu instid0(SALU_CYCLE_1)
	s_or_b32 exec_lo, exec_lo, s4
.LBB1_93:
	s_delay_alu instid0(SALU_CYCLE_1)
	s_or_b32 exec_lo, exec_lo, s1
	v_readfirstlane_b32 s4, v2
	v_mov_b32_e32 v5, 0
	v_readfirstlane_b32 s5, v3
	s_mov_b32 s1, exec_lo
	s_wait_kmcnt 0x0
	s_clause 0x1
	global_load_b64 v[6:7], v5, s[2:3] offset:40
	global_load_b128 v[8:11], v5, s[2:3]
	s_wait_loadcnt 0x1
	v_and_b32_e32 v2, s4, v6
	v_and_b32_e32 v3, s5, v7
	s_delay_alu instid0(VALU_DEP_1) | instskip(SKIP_1) | instid1(VALU_DEP_1)
	v_mul_u64_e32 v[6:7], 24, v[2:3]
	s_wait_loadcnt 0x0
	v_add_nc_u64_e32 v[12:13], v[8:9], v[6:7]
	s_wait_xcnt 0x0
	s_and_saveexec_b32 s7, s0
	s_cbranch_execz .LBB1_95
; %bb.94:
	v_mov_b64_e32 v[6:7], 0x100000002
	v_mov_b32_e32 v4, s1
	global_store_b128 v[12:13], v[4:7], off offset:8
.LBB1_95:
	s_wait_xcnt 0x0
	s_or_b32 exec_lo, exec_lo, s7
	v_lshlrev_b64_e32 v[2:3], 12, v[2:3]
	s_mov_b32 s8, 0
	v_and_or_b32 v0, 0xffffff1f, v14, 32
	s_mov_b32 s10, s8
	s_mov_b32 s11, s8
	;; [unrolled: 1-line block ×3, first 2 shown]
	v_mov_b64_e32 v[16:17], s[10:11]
	v_add_nc_u64_e32 v[6:7], v[10:11], v[2:3]
	v_mov_b64_e32 v[14:15], s[8:9]
	v_dual_lshlrev_b32 v4, 6, v30 :: v_dual_mov_b32 v2, v5
	v_mov_b32_e32 v3, v5
	s_delay_alu instid0(VALU_DEP_4)
	v_readfirstlane_b32 s12, v6
	v_readfirstlane_b32 s13, v7
	s_clause 0x3
	global_store_b128 v4, v[0:3], s[12:13]
	global_store_b128 v4, v[14:17], s[12:13] offset:16
	global_store_b128 v4, v[14:17], s[12:13] offset:32
	;; [unrolled: 1-line block ×3, first 2 shown]
	s_wait_xcnt 0x0
	s_and_saveexec_b32 s1, s0
	s_cbranch_execz .LBB1_102
; %bb.96:
	v_dual_mov_b32 v10, 0 :: v_dual_mov_b32 v15, s5
	s_mov_b32 s7, exec_lo
	s_clause 0x1
	global_load_b64 v[16:17], v10, s[2:3] offset:32 scope:SCOPE_SYS
	global_load_b64 v[0:1], v10, s[2:3] offset:40
	s_wait_loadcnt 0x0
	v_dual_mov_b32 v14, s4 :: v_dual_bitop2_b32 v1, s5, v1 bitop3:0x40
	v_and_b32_e32 v0, s4, v0
	s_delay_alu instid0(VALU_DEP_1) | instskip(NEXT) | instid1(VALU_DEP_1)
	v_mul_u64_e32 v[0:1], 24, v[0:1]
	v_add_nc_u64_e32 v[8:9], v[8:9], v[0:1]
	global_store_b64 v[8:9], v[16:17], off
	global_wb scope:SCOPE_SYS
	s_wait_storecnt 0x0
	s_wait_xcnt 0x0
	global_atomic_cmpswap_b64 v[2:3], v10, v[14:17], s[2:3] offset:32 th:TH_ATOMIC_RETURN scope:SCOPE_SYS
	s_wait_loadcnt 0x0
	v_cmpx_ne_u64_e64 v[2:3], v[16:17]
	s_cbranch_execz .LBB1_98
.LBB1_97:                               ; =>This Inner Loop Header: Depth=1
	v_dual_mov_b32 v0, s4 :: v_dual_mov_b32 v1, s5
	s_sleep 1
	global_store_b64 v[8:9], v[2:3], off
	global_wb scope:SCOPE_SYS
	s_wait_storecnt 0x0
	s_wait_xcnt 0x0
	global_atomic_cmpswap_b64 v[0:1], v10, v[0:3], s[2:3] offset:32 th:TH_ATOMIC_RETURN scope:SCOPE_SYS
	s_wait_loadcnt 0x0
	v_cmp_eq_u64_e32 vcc_lo, v[0:1], v[2:3]
	v_mov_b64_e32 v[2:3], v[0:1]
	s_or_b32 s8, vcc_lo, s8
	s_delay_alu instid0(SALU_CYCLE_1)
	s_and_not1_b32 exec_lo, exec_lo, s8
	s_cbranch_execnz .LBB1_97
.LBB1_98:
	s_or_b32 exec_lo, exec_lo, s7
	v_mov_b32_e32 v3, 0
	s_mov_b32 s8, exec_lo
	s_mov_b32 s7, exec_lo
	v_mbcnt_lo_u32_b32 v2, s8, 0
	global_load_b64 v[0:1], v3, s[2:3] offset:16
	s_wait_xcnt 0x0
	v_cmpx_eq_u32_e32 0, v2
	s_cbranch_execz .LBB1_100
; %bb.99:
	s_bcnt1_i32_b32 s8, s8
	s_delay_alu instid0(SALU_CYCLE_1)
	v_mov_b32_e32 v2, s8
	global_wb scope:SCOPE_SYS
	s_wait_loadcnt 0x0
	s_wait_storecnt 0x0
	global_atomic_add_u64 v[0:1], v[2:3], off offset:8 scope:SCOPE_SYS
.LBB1_100:
	s_wait_xcnt 0x0
	s_or_b32 exec_lo, exec_lo, s7
	s_wait_loadcnt 0x0
	global_load_b64 v[2:3], v[0:1], off offset:16
	s_wait_loadcnt 0x0
	v_cmp_eq_u64_e32 vcc_lo, 0, v[2:3]
	s_cbranch_vccnz .LBB1_102
; %bb.101:
	global_load_b32 v0, v[0:1], off offset:24
	s_wait_xcnt 0x0
	v_mov_b32_e32 v1, 0
	s_wait_loadcnt 0x0
	v_readfirstlane_b32 s7, v0
	global_wb scope:SCOPE_SYS
	s_wait_storecnt 0x0
	global_store_b64 v[2:3], v[0:1], off scope:SCOPE_SYS
	s_and_b32 m0, s7, 0xffffff
	s_sendmsg sendmsg(MSG_INTERRUPT)
.LBB1_102:
	s_wait_xcnt 0x0
	s_or_b32 exec_lo, exec_lo, s1
	v_add_nc_u64_e32 v[0:1], v[6:7], v[4:5]
	s_branch .LBB1_106
.LBB1_103:                              ;   in Loop: Header=BB1_106 Depth=1
	s_wait_xcnt 0x0
	s_or_b32 exec_lo, exec_lo, s1
	s_delay_alu instid0(VALU_DEP_1)
	v_readfirstlane_b32 s1, v2
	s_cmp_eq_u32 s1, 0
	s_cbranch_scc1 .LBB1_105
; %bb.104:                              ;   in Loop: Header=BB1_106 Depth=1
	s_sleep 1
	s_cbranch_execnz .LBB1_106
	s_branch .LBB1_109
.LBB1_105:
	s_branch .LBB1_109
.LBB1_106:                              ; =>This Inner Loop Header: Depth=1
	v_mov_b32_e32 v2, 1
	s_and_saveexec_b32 s1, s0
	s_cbranch_execz .LBB1_103
; %bb.107:                              ;   in Loop: Header=BB1_106 Depth=1
	global_load_b32 v2, v[12:13], off offset:20 scope:SCOPE_SYS
	s_wait_loadcnt 0x0
	global_inv scope:SCOPE_SYS
	v_and_b32_e32 v2, 1, v2
	s_branch .LBB1_103
.LBB1_108:
	s_or_b32 exec_lo, exec_lo, s6
	s_wait_loadcnt 0x0
	s_wait_kmcnt 0x0
	s_set_pc_i64 s[30:31]
.LBB1_109:
	global_load_b64 v[0:1], v[0:1], off
	s_wait_xcnt 0x0
	s_and_saveexec_b32 s7, s0
	s_cbranch_execz .LBB1_113
; %bb.110:
	v_mov_b32_e32 v8, 0
	s_clause 0x2
	global_load_b64 v[2:3], v8, s[2:3] offset:40
	global_load_b64 v[12:13], v8, s[2:3] offset:24 scope:SCOPE_SYS
	global_load_b64 v[4:5], v8, s[2:3]
	s_wait_loadcnt 0x2
	v_readfirstlane_b32 s8, v2
	v_readfirstlane_b32 s9, v3
	s_add_nc_u64 s[0:1], s[8:9], 1
	s_delay_alu instid0(SALU_CYCLE_1) | instskip(NEXT) | instid1(SALU_CYCLE_1)
	s_add_nc_u64 s[4:5], s[0:1], s[4:5]
	s_cmp_eq_u64 s[4:5], 0
	s_cselect_b32 s1, s1, s5
	s_cselect_b32 s0, s0, s4
	v_mov_b32_e32 v11, s1
	s_and_b64 s[4:5], s[0:1], s[8:9]
	v_mov_b32_e32 v10, s0
	s_mul_u64 s[4:5], s[4:5], 24
	s_wait_loadcnt 0x0
	v_add_nc_u64_e32 v[6:7], s[4:5], v[4:5]
	global_store_b64 v[6:7], v[12:13], off
	global_wb scope:SCOPE_SYS
	s_wait_storecnt 0x0
	s_wait_xcnt 0x0
	global_atomic_cmpswap_b64 v[4:5], v8, v[10:13], s[2:3] offset:24 th:TH_ATOMIC_RETURN scope:SCOPE_SYS
	s_wait_loadcnt 0x0
	v_cmp_ne_u64_e32 vcc_lo, v[4:5], v[12:13]
	s_and_b32 exec_lo, exec_lo, vcc_lo
	s_cbranch_execz .LBB1_113
; %bb.111:
	s_mov_b32 s4, 0
.LBB1_112:                              ; =>This Inner Loop Header: Depth=1
	v_dual_mov_b32 v2, s0 :: v_dual_mov_b32 v3, s1
	s_sleep 1
	global_store_b64 v[6:7], v[4:5], off
	global_wb scope:SCOPE_SYS
	s_wait_storecnt 0x0
	s_wait_xcnt 0x0
	global_atomic_cmpswap_b64 v[2:3], v8, v[2:5], s[2:3] offset:24 th:TH_ATOMIC_RETURN scope:SCOPE_SYS
	s_wait_loadcnt 0x0
	v_cmp_eq_u64_e32 vcc_lo, v[2:3], v[4:5]
	v_mov_b64_e32 v[4:5], v[2:3]
	s_or_b32 s4, vcc_lo, s4
	s_delay_alu instid0(SALU_CYCLE_1)
	s_and_not1_b32 exec_lo, exec_lo, s4
	s_cbranch_execnz .LBB1_112
.LBB1_113:
	s_or_b32 exec_lo, exec_lo, s7
	s_delay_alu instid0(SALU_CYCLE_1)
	s_or_b32 exec_lo, exec_lo, s6
	s_wait_loadcnt 0x0
	s_wait_kmcnt 0x0
	s_set_pc_i64 s[30:31]
.Lfunc_end1:
	.size	__ockl_printf_append_string_n, .Lfunc_end1-__ockl_printf_append_string_n
                                        ; -- End function
	.set .L__ockl_printf_append_string_n.num_vgpr, 38
	.set .L__ockl_printf_append_string_n.num_agpr, 0
	.set .L__ockl_printf_append_string_n.numbered_sgpr, 32
	.set .L__ockl_printf_append_string_n.num_named_barrier, 0
	.set .L__ockl_printf_append_string_n.private_seg_size, 0
	.set .L__ockl_printf_append_string_n.uses_vcc, 1
	.set .L__ockl_printf_append_string_n.uses_flat_scratch, 0
	.set .L__ockl_printf_append_string_n.has_dyn_sized_stack, 0
	.set .L__ockl_printf_append_string_n.has_recursion, 0
	.set .L__ockl_printf_append_string_n.has_indirect_call, 0
	.section	.AMDGPU.csdata,"",@progbits
; Function info:
; codeLenInByte = 4332
; TotalNumSgprs: 34
; NumVgprs: 38
; ScratchSize: 0
; MemoryBound: 0
	.text
	.protected	_Z8printAIGPKiS0_S0_iii ; -- Begin function _Z8printAIGPKiS0_S0_iii
	.globl	_Z8printAIGPKiS0_S0_iii
	.p2align	8
	.type	_Z8printAIGPKiS0_S0_iii,@function
_Z8printAIGPKiS0_S0_iii:                ; @_Z8printAIGPKiS0_S0_iii
; %bb.0:
	s_load_b64 s[20:21], s[0:1], 0x78
	v_mbcnt_lo_u32_b32 v46, -1, 0
	v_mov_b64_e32 v[4:5], 0
	s_mov_b32 s32, 0
	s_delay_alu instid0(VALU_DEP_2) | instskip(NEXT) | instid1(VALU_DEP_1)
	v_readfirstlane_b32 s2, v46
	v_cmp_eq_u32_e64 s2, s2, v46
	s_and_saveexec_b32 s3, s2
	s_cbranch_execz .LBB2_6
; %bb.1:
	v_mov_b32_e32 v0, 0
	s_mov_b32 s4, exec_lo
	s_wait_kmcnt 0x0
	global_load_b64 v[6:7], v0, s[20:21] offset:24 scope:SCOPE_SYS
	s_wait_loadcnt 0x0
	global_inv scope:SCOPE_SYS
	s_clause 0x1
	global_load_b64 v[2:3], v0, s[20:21] offset:40
	global_load_b64 v[4:5], v0, s[20:21]
	s_wait_loadcnt 0x1
	v_and_b32_e32 v2, v2, v6
	v_and_b32_e32 v3, v3, v7
	s_delay_alu instid0(VALU_DEP_1) | instskip(SKIP_1) | instid1(VALU_DEP_1)
	v_mul_u64_e32 v[2:3], 24, v[2:3]
	s_wait_loadcnt 0x0
	v_add_nc_u64_e32 v[2:3], v[4:5], v[2:3]
	global_load_b64 v[4:5], v[2:3], off scope:SCOPE_SYS
	s_wait_xcnt 0x0
	s_wait_loadcnt 0x0
	global_atomic_cmpswap_b64 v[4:5], v0, v[4:7], s[20:21] offset:24 th:TH_ATOMIC_RETURN scope:SCOPE_SYS
	s_wait_loadcnt 0x0
	global_inv scope:SCOPE_SYS
	s_wait_xcnt 0x0
	v_cmpx_ne_u64_e64 v[4:5], v[6:7]
	s_cbranch_execz .LBB2_5
; %bb.2:
	s_mov_b32 s5, 0
.LBB2_3:                                ; =>This Inner Loop Header: Depth=1
	s_sleep 1
	s_clause 0x1
	global_load_b64 v[2:3], v0, s[20:21] offset:40
	global_load_b64 v[8:9], v0, s[20:21]
	v_mov_b64_e32 v[6:7], v[4:5]
	s_wait_loadcnt 0x1
	s_delay_alu instid0(VALU_DEP_1) | instskip(SKIP_1) | instid1(VALU_DEP_1)
	v_and_b32_e32 v1, v2, v6
	s_wait_loadcnt 0x0
	v_mad_nc_u64_u32 v[4:5], v1, 24, v[8:9]
	s_delay_alu instid0(VALU_DEP_3) | instskip(NEXT) | instid1(VALU_DEP_1)
	v_and_b32_e32 v1, v3, v7
	v_mad_u32 v5, v1, 24, v5
	global_load_b64 v[4:5], v[4:5], off scope:SCOPE_SYS
	s_wait_xcnt 0x0
	s_wait_loadcnt 0x0
	global_atomic_cmpswap_b64 v[4:5], v0, v[4:7], s[20:21] offset:24 th:TH_ATOMIC_RETURN scope:SCOPE_SYS
	s_wait_loadcnt 0x0
	global_inv scope:SCOPE_SYS
	v_cmp_eq_u64_e32 vcc_lo, v[4:5], v[6:7]
	s_or_b32 s5, vcc_lo, s5
	s_wait_xcnt 0x0
	s_and_not1_b32 exec_lo, exec_lo, s5
	s_cbranch_execnz .LBB2_3
; %bb.4:
	s_or_b32 exec_lo, exec_lo, s5
.LBB2_5:
	s_delay_alu instid0(SALU_CYCLE_1)
	s_or_b32 exec_lo, exec_lo, s4
.LBB2_6:
	s_delay_alu instid0(SALU_CYCLE_1)
	s_or_b32 exec_lo, exec_lo, s3
	v_readfirstlane_b32 s4, v4
	v_mov_b32_e32 v39, 0
	v_readfirstlane_b32 s5, v5
	s_mov_b32 s3, exec_lo
	s_wait_kmcnt 0x0
	s_clause 0x1
	global_load_b64 v[6:7], v39, s[20:21] offset:40
	global_load_b128 v[0:3], v39, s[20:21]
	s_wait_loadcnt 0x1
	v_and_b32_e32 v6, s4, v6
	v_and_b32_e32 v7, s5, v7
	s_delay_alu instid0(VALU_DEP_1) | instskip(SKIP_1) | instid1(VALU_DEP_1)
	v_mul_u64_e32 v[4:5], 24, v[6:7]
	s_wait_loadcnt 0x0
	v_add_nc_u64_e32 v[4:5], v[0:1], v[4:5]
	s_and_saveexec_b32 s6, s2
	s_cbranch_execz .LBB2_8
; %bb.7:
	v_mov_b64_e32 v[40:41], 0x100000002
	v_mov_b32_e32 v38, s3
	global_store_b128 v[4:5], v[38:41], off offset:8
.LBB2_8:
	s_wait_xcnt 0x0
	s_or_b32 exec_lo, exec_lo, s6
	v_lshlrev_b64_e32 v[6:7], 12, v[6:7]
	s_mov_b32 s8, 0
	v_dual_lshlrev_b32 v38, 6, v46 :: v_dual_mov_b32 v8, 33
	s_mov_b32 s10, s8
	s_mov_b32 s11, s8
	;; [unrolled: 1-line block ×3, first 2 shown]
	s_delay_alu instid0(VALU_DEP_2)
	v_add_nc_u64_e32 v[6:7], v[2:3], v[6:7]
	v_mov_b64_e32 v[14:15], s[10:11]
	v_mov_b64_e32 v[12:13], s[8:9]
	v_dual_mov_b32 v9, v39 :: v_dual_mov_b32 v10, v39
	v_mov_b32_e32 v11, v39
	v_readfirstlane_b32 s6, v6
	v_readfirstlane_b32 s7, v7
	s_clause 0x3
	global_store_b128 v38, v[8:11], s[6:7]
	global_store_b128 v38, v[12:15], s[6:7] offset:16
	global_store_b128 v38, v[12:15], s[6:7] offset:32
	;; [unrolled: 1-line block ×3, first 2 shown]
	s_wait_xcnt 0x0
	s_and_saveexec_b32 s3, s2
	s_cbranch_execz .LBB2_16
; %bb.9:
	v_dual_mov_b32 v10, 0 :: v_dual_mov_b32 v13, s5
	s_mov_b32 s6, exec_lo
	s_clause 0x1
	global_load_b64 v[14:15], v10, s[20:21] offset:32 scope:SCOPE_SYS
	global_load_b64 v[2:3], v10, s[20:21] offset:40
	s_wait_loadcnt 0x0
	v_dual_mov_b32 v12, s4 :: v_dual_bitop2_b32 v3, s5, v3 bitop3:0x40
	v_and_b32_e32 v2, s4, v2
	s_delay_alu instid0(VALU_DEP_1) | instskip(NEXT) | instid1(VALU_DEP_1)
	v_mul_u64_e32 v[2:3], 24, v[2:3]
	v_add_nc_u64_e32 v[8:9], v[0:1], v[2:3]
	global_store_b64 v[8:9], v[14:15], off
	global_wb scope:SCOPE_SYS
	s_wait_storecnt 0x0
	s_wait_xcnt 0x0
	global_atomic_cmpswap_b64 v[2:3], v10, v[12:15], s[20:21] offset:32 th:TH_ATOMIC_RETURN scope:SCOPE_SYS
	s_wait_loadcnt 0x0
	v_cmpx_ne_u64_e64 v[2:3], v[14:15]
	s_cbranch_execz .LBB2_12
; %bb.10:
	s_mov_b32 s7, 0
.LBB2_11:                               ; =>This Inner Loop Header: Depth=1
	v_dual_mov_b32 v0, s4 :: v_dual_mov_b32 v1, s5
	s_sleep 1
	global_store_b64 v[8:9], v[2:3], off
	global_wb scope:SCOPE_SYS
	s_wait_storecnt 0x0
	s_wait_xcnt 0x0
	global_atomic_cmpswap_b64 v[0:1], v10, v[0:3], s[20:21] offset:32 th:TH_ATOMIC_RETURN scope:SCOPE_SYS
	s_wait_loadcnt 0x0
	v_cmp_eq_u64_e32 vcc_lo, v[0:1], v[2:3]
	v_mov_b64_e32 v[2:3], v[0:1]
	s_or_b32 s7, vcc_lo, s7
	s_delay_alu instid0(SALU_CYCLE_1)
	s_and_not1_b32 exec_lo, exec_lo, s7
	s_cbranch_execnz .LBB2_11
.LBB2_12:
	s_or_b32 exec_lo, exec_lo, s6
	v_mov_b32_e32 v3, 0
	s_mov_b32 s7, exec_lo
	s_mov_b32 s6, exec_lo
	v_mbcnt_lo_u32_b32 v2, s7, 0
	global_load_b64 v[0:1], v3, s[20:21] offset:16
	s_wait_xcnt 0x0
	v_cmpx_eq_u32_e32 0, v2
	s_cbranch_execz .LBB2_14
; %bb.13:
	s_bcnt1_i32_b32 s7, s7
	s_delay_alu instid0(SALU_CYCLE_1)
	v_mov_b32_e32 v2, s7
	global_wb scope:SCOPE_SYS
	s_wait_loadcnt 0x0
	s_wait_storecnt 0x0
	global_atomic_add_u64 v[0:1], v[2:3], off offset:8 scope:SCOPE_SYS
.LBB2_14:
	s_wait_xcnt 0x0
	s_or_b32 exec_lo, exec_lo, s6
	s_wait_loadcnt 0x0
	global_load_b64 v[2:3], v[0:1], off offset:16
	s_wait_loadcnt 0x0
	v_cmp_eq_u64_e32 vcc_lo, 0, v[2:3]
	s_cbranch_vccnz .LBB2_16
; %bb.15:
	global_load_b32 v0, v[0:1], off offset:24
	s_wait_xcnt 0x0
	v_mov_b32_e32 v1, 0
	s_wait_loadcnt 0x0
	v_readfirstlane_b32 s6, v0
	global_wb scope:SCOPE_SYS
	s_wait_storecnt 0x0
	global_store_b64 v[2:3], v[0:1], off scope:SCOPE_SYS
	s_and_b32 m0, s6, 0xffffff
	s_sendmsg sendmsg(MSG_INTERRUPT)
.LBB2_16:
	s_wait_xcnt 0x0
	s_or_b32 exec_lo, exec_lo, s3
	v_add_nc_u64_e32 v[0:1], v[6:7], v[38:39]
	s_branch .LBB2_20
.LBB2_17:                               ;   in Loop: Header=BB2_20 Depth=1
	s_wait_xcnt 0x0
	s_or_b32 exec_lo, exec_lo, s3
	s_delay_alu instid0(VALU_DEP_1)
	v_readfirstlane_b32 s3, v2
	s_cmp_eq_u32 s3, 0
	s_cbranch_scc1 .LBB2_19
; %bb.18:                               ;   in Loop: Header=BB2_20 Depth=1
	s_sleep 1
	s_cbranch_execnz .LBB2_20
	s_branch .LBB2_22
.LBB2_19:
	s_branch .LBB2_22
.LBB2_20:                               ; =>This Inner Loop Header: Depth=1
	v_mov_b32_e32 v2, 1
	s_and_saveexec_b32 s3, s2
	s_cbranch_execz .LBB2_17
; %bb.21:                               ;   in Loop: Header=BB2_20 Depth=1
	global_load_b32 v2, v[4:5], off offset:20 scope:SCOPE_SYS
	s_wait_loadcnt 0x0
	global_inv scope:SCOPE_SYS
	v_and_b32_e32 v2, 1, v2
	s_branch .LBB2_17
.LBB2_22:
	global_load_b64 v[0:1], v[0:1], off
	s_wait_xcnt 0x0
	s_and_saveexec_b32 s6, s2
	s_cbranch_execz .LBB2_26
; %bb.23:
	v_mov_b32_e32 v8, 0
	s_clause 0x2
	global_load_b64 v[2:3], v8, s[20:21] offset:40
	global_load_b64 v[12:13], v8, s[20:21] offset:24 scope:SCOPE_SYS
	global_load_b64 v[4:5], v8, s[20:21]
	s_wait_loadcnt 0x2
	v_readfirstlane_b32 s8, v2
	v_readfirstlane_b32 s9, v3
	s_add_nc_u64 s[2:3], s[8:9], 1
	s_delay_alu instid0(SALU_CYCLE_1) | instskip(NEXT) | instid1(SALU_CYCLE_1)
	s_add_nc_u64 s[4:5], s[2:3], s[4:5]
	s_cmp_eq_u64 s[4:5], 0
	s_cselect_b32 s3, s3, s5
	s_cselect_b32 s2, s2, s4
	v_mov_b32_e32 v11, s3
	s_and_b64 s[4:5], s[2:3], s[8:9]
	v_mov_b32_e32 v10, s2
	s_mul_u64 s[4:5], s[4:5], 24
	s_wait_loadcnt 0x0
	v_add_nc_u64_e32 v[6:7], s[4:5], v[4:5]
	global_store_b64 v[6:7], v[12:13], off
	global_wb scope:SCOPE_SYS
	s_wait_storecnt 0x0
	s_wait_xcnt 0x0
	global_atomic_cmpswap_b64 v[4:5], v8, v[10:13], s[20:21] offset:24 th:TH_ATOMIC_RETURN scope:SCOPE_SYS
	s_wait_loadcnt 0x0
	v_cmp_ne_u64_e32 vcc_lo, v[4:5], v[12:13]
	s_and_b32 exec_lo, exec_lo, vcc_lo
	s_cbranch_execz .LBB2_26
; %bb.24:
	s_mov_b32 s4, 0
.LBB2_25:                               ; =>This Inner Loop Header: Depth=1
	v_dual_mov_b32 v2, s2 :: v_dual_mov_b32 v3, s3
	s_sleep 1
	global_store_b64 v[6:7], v[4:5], off
	global_wb scope:SCOPE_SYS
	s_wait_storecnt 0x0
	s_wait_xcnt 0x0
	global_atomic_cmpswap_b64 v[2:3], v8, v[2:5], s[20:21] offset:24 th:TH_ATOMIC_RETURN scope:SCOPE_SYS
	s_wait_loadcnt 0x0
	v_cmp_eq_u64_e32 vcc_lo, v[2:3], v[4:5]
	v_mov_b64_e32 v[4:5], v[2:3]
	s_or_b32 s4, vcc_lo, s4
	s_delay_alu instid0(SALU_CYCLE_1)
	s_and_not1_b32 exec_lo, exec_lo, s4
	s_cbranch_execnz .LBB2_25
.LBB2_26:
	s_or_b32 exec_lo, exec_lo, s6
	s_get_pc_i64 s[4:5]
	s_add_nc_u64 s[4:5], s[4:5], .str.6@rel64+4
	s_delay_alu instid0(SALU_CYCLE_1)
	s_cmp_lg_u64 s[4:5], 0
	s_cbranch_scc0 .LBB2_105
; %bb.27:
	v_mov_b64_e32 v[4:5], 0x100000002
	s_wait_loadcnt 0x0
	v_dual_mov_b32 v7, v1 :: v_dual_bitop2_b32 v6, -3, v0 bitop3:0x40
	v_mov_b32_e32 v3, 0
	s_mov_b64 s[6:7], 19
	s_branch .LBB2_29
.LBB2_28:                               ;   in Loop: Header=BB2_29 Depth=1
	s_or_b32 exec_lo, exec_lo, s12
	s_sub_nc_u64 s[6:7], s[6:7], s[8:9]
	s_add_nc_u64 s[4:5], s[4:5], s[8:9]
	s_cmp_lg_u64 s[6:7], 0
	s_cbranch_scc0 .LBB2_104
.LBB2_29:                               ; =>This Loop Header: Depth=1
                                        ;     Child Loop BB2_32 Depth 2
                                        ;     Child Loop BB2_39 Depth 2
	;; [unrolled: 1-line block ×11, first 2 shown]
	s_wait_loadcnt 0x0
	v_min_u64 v[8:9], s[6:7], 56
	v_cmp_gt_u64_e64 s2, s[6:7], 7
	s_and_b32 vcc_lo, exec_lo, s2
	v_readfirstlane_b32 s8, v8
	v_readfirstlane_b32 s9, v9
	s_cbranch_vccnz .LBB2_34
; %bb.30:                               ;   in Loop: Header=BB2_29 Depth=1
	v_mov_b64_e32 v[8:9], 0
	s_cmp_eq_u64 s[6:7], 0
	s_cbranch_scc1 .LBB2_33
; %bb.31:                               ;   in Loop: Header=BB2_29 Depth=1
	s_mov_b64 s[2:3], 0
	s_mov_b64 s[10:11], 0
.LBB2_32:                               ;   Parent Loop BB2_29 Depth=1
                                        ; =>  This Inner Loop Header: Depth=2
	s_wait_xcnt 0x0
	s_add_nc_u64 s[12:13], s[4:5], s[10:11]
	s_add_nc_u64 s[10:11], s[10:11], 1
	global_load_u8 v2, v3, s[12:13]
	s_cmp_lg_u32 s8, s10
	s_wait_loadcnt 0x0
	v_and_b32_e32 v2, 0xffff, v2
	s_delay_alu instid0(VALU_DEP_1) | instskip(SKIP_1) | instid1(VALU_DEP_1)
	v_lshlrev_b64_e32 v[10:11], s2, v[2:3]
	s_add_nc_u64 s[2:3], s[2:3], 8
	v_or_b32_e32 v8, v10, v8
	s_delay_alu instid0(VALU_DEP_2)
	v_or_b32_e32 v9, v11, v9
	s_cbranch_scc1 .LBB2_32
.LBB2_33:                               ;   in Loop: Header=BB2_29 Depth=1
	s_mov_b64 s[10:11], s[4:5]
	s_mov_b32 s14, 0
	s_cbranch_execz .LBB2_35
	s_branch .LBB2_36
.LBB2_34:                               ;   in Loop: Header=BB2_29 Depth=1
	s_add_nc_u64 s[10:11], s[4:5], 8
	s_mov_b32 s14, 0
.LBB2_35:                               ;   in Loop: Header=BB2_29 Depth=1
	global_load_b64 v[8:9], v3, s[4:5]
	s_add_co_i32 s14, s8, -8
.LBB2_36:                               ;   in Loop: Header=BB2_29 Depth=1
	s_delay_alu instid0(SALU_CYCLE_1)
	s_cmp_gt_u32 s14, 7
	s_cbranch_scc1 .LBB2_41
; %bb.37:                               ;   in Loop: Header=BB2_29 Depth=1
	v_mov_b64_e32 v[10:11], 0
	s_cmp_eq_u32 s14, 0
	s_cbranch_scc1 .LBB2_40
; %bb.38:                               ;   in Loop: Header=BB2_29 Depth=1
	s_mov_b64 s[2:3], 0
	s_wait_xcnt 0x0
	s_mov_b64 s[12:13], 0
.LBB2_39:                               ;   Parent Loop BB2_29 Depth=1
                                        ; =>  This Inner Loop Header: Depth=2
	s_wait_xcnt 0x0
	s_add_nc_u64 s[16:17], s[10:11], s[12:13]
	s_add_nc_u64 s[12:13], s[12:13], 1
	global_load_u8 v2, v3, s[16:17]
	s_cmp_lg_u32 s14, s12
	s_wait_loadcnt 0x0
	v_and_b32_e32 v2, 0xffff, v2
	s_delay_alu instid0(VALU_DEP_1) | instskip(SKIP_1) | instid1(VALU_DEP_1)
	v_lshlrev_b64_e32 v[12:13], s2, v[2:3]
	s_add_nc_u64 s[2:3], s[2:3], 8
	v_or_b32_e32 v10, v12, v10
	s_delay_alu instid0(VALU_DEP_2)
	v_or_b32_e32 v11, v13, v11
	s_cbranch_scc1 .LBB2_39
.LBB2_40:                               ;   in Loop: Header=BB2_29 Depth=1
	s_wait_xcnt 0x0
	s_mov_b64 s[2:3], s[10:11]
	s_mov_b32 s15, 0
	s_cbranch_execz .LBB2_42
	s_branch .LBB2_43
.LBB2_41:                               ;   in Loop: Header=BB2_29 Depth=1
	s_add_nc_u64 s[2:3], s[10:11], 8
	s_wait_xcnt 0x0
                                        ; implicit-def: $vgpr10_vgpr11
	s_mov_b32 s15, 0
.LBB2_42:                               ;   in Loop: Header=BB2_29 Depth=1
	global_load_b64 v[10:11], v3, s[10:11]
	s_add_co_i32 s15, s14, -8
.LBB2_43:                               ;   in Loop: Header=BB2_29 Depth=1
	s_delay_alu instid0(SALU_CYCLE_1)
	s_cmp_gt_u32 s15, 7
	s_cbranch_scc1 .LBB2_48
; %bb.44:                               ;   in Loop: Header=BB2_29 Depth=1
	v_mov_b64_e32 v[12:13], 0
	s_cmp_eq_u32 s15, 0
	s_cbranch_scc1 .LBB2_47
; %bb.45:                               ;   in Loop: Header=BB2_29 Depth=1
	s_wait_xcnt 0x0
	s_mov_b64 s[10:11], 0
	s_mov_b64 s[12:13], 0
.LBB2_46:                               ;   Parent Loop BB2_29 Depth=1
                                        ; =>  This Inner Loop Header: Depth=2
	s_wait_xcnt 0x0
	s_add_nc_u64 s[16:17], s[2:3], s[12:13]
	s_add_nc_u64 s[12:13], s[12:13], 1
	global_load_u8 v2, v3, s[16:17]
	s_cmp_lg_u32 s15, s12
	s_wait_loadcnt 0x0
	v_and_b32_e32 v2, 0xffff, v2
	s_delay_alu instid0(VALU_DEP_1) | instskip(SKIP_1) | instid1(VALU_DEP_1)
	v_lshlrev_b64_e32 v[14:15], s10, v[2:3]
	s_add_nc_u64 s[10:11], s[10:11], 8
	v_or_b32_e32 v12, v14, v12
	s_delay_alu instid0(VALU_DEP_2)
	v_or_b32_e32 v13, v15, v13
	s_cbranch_scc1 .LBB2_46
.LBB2_47:                               ;   in Loop: Header=BB2_29 Depth=1
	s_wait_xcnt 0x0
	s_mov_b64 s[10:11], s[2:3]
	s_mov_b32 s14, 0
	s_cbranch_execz .LBB2_49
	s_branch .LBB2_50
.LBB2_48:                               ;   in Loop: Header=BB2_29 Depth=1
	s_wait_xcnt 0x0
	s_add_nc_u64 s[10:11], s[2:3], 8
	s_mov_b32 s14, 0
.LBB2_49:                               ;   in Loop: Header=BB2_29 Depth=1
	global_load_b64 v[12:13], v3, s[2:3]
	s_add_co_i32 s14, s15, -8
.LBB2_50:                               ;   in Loop: Header=BB2_29 Depth=1
	s_delay_alu instid0(SALU_CYCLE_1)
	s_cmp_gt_u32 s14, 7
	s_cbranch_scc1 .LBB2_55
; %bb.51:                               ;   in Loop: Header=BB2_29 Depth=1
	v_mov_b64_e32 v[14:15], 0
	s_cmp_eq_u32 s14, 0
	s_cbranch_scc1 .LBB2_54
; %bb.52:                               ;   in Loop: Header=BB2_29 Depth=1
	s_wait_xcnt 0x0
	s_mov_b64 s[2:3], 0
	s_mov_b64 s[12:13], 0
.LBB2_53:                               ;   Parent Loop BB2_29 Depth=1
                                        ; =>  This Inner Loop Header: Depth=2
	s_wait_xcnt 0x0
	s_add_nc_u64 s[16:17], s[10:11], s[12:13]
	s_add_nc_u64 s[12:13], s[12:13], 1
	global_load_u8 v2, v3, s[16:17]
	s_cmp_lg_u32 s14, s12
	s_wait_loadcnt 0x0
	v_and_b32_e32 v2, 0xffff, v2
	s_delay_alu instid0(VALU_DEP_1) | instskip(SKIP_1) | instid1(VALU_DEP_1)
	v_lshlrev_b64_e32 v[16:17], s2, v[2:3]
	s_add_nc_u64 s[2:3], s[2:3], 8
	v_or_b32_e32 v14, v16, v14
	s_delay_alu instid0(VALU_DEP_2)
	v_or_b32_e32 v15, v17, v15
	s_cbranch_scc1 .LBB2_53
.LBB2_54:                               ;   in Loop: Header=BB2_29 Depth=1
	s_wait_xcnt 0x0
	s_mov_b64 s[2:3], s[10:11]
	s_mov_b32 s15, 0
	s_cbranch_execz .LBB2_56
	s_branch .LBB2_57
.LBB2_55:                               ;   in Loop: Header=BB2_29 Depth=1
	s_wait_xcnt 0x0
	s_add_nc_u64 s[2:3], s[10:11], 8
                                        ; implicit-def: $vgpr14_vgpr15
	s_mov_b32 s15, 0
.LBB2_56:                               ;   in Loop: Header=BB2_29 Depth=1
	global_load_b64 v[14:15], v3, s[10:11]
	s_add_co_i32 s15, s14, -8
.LBB2_57:                               ;   in Loop: Header=BB2_29 Depth=1
	s_delay_alu instid0(SALU_CYCLE_1)
	s_cmp_gt_u32 s15, 7
	s_cbranch_scc1 .LBB2_62
; %bb.58:                               ;   in Loop: Header=BB2_29 Depth=1
	v_mov_b64_e32 v[16:17], 0
	s_cmp_eq_u32 s15, 0
	s_cbranch_scc1 .LBB2_61
; %bb.59:                               ;   in Loop: Header=BB2_29 Depth=1
	s_wait_xcnt 0x0
	s_mov_b64 s[10:11], 0
	s_mov_b64 s[12:13], 0
.LBB2_60:                               ;   Parent Loop BB2_29 Depth=1
                                        ; =>  This Inner Loop Header: Depth=2
	s_wait_xcnt 0x0
	s_add_nc_u64 s[16:17], s[2:3], s[12:13]
	s_add_nc_u64 s[12:13], s[12:13], 1
	global_load_u8 v2, v3, s[16:17]
	s_cmp_lg_u32 s15, s12
	s_wait_loadcnt 0x0
	v_and_b32_e32 v2, 0xffff, v2
	s_delay_alu instid0(VALU_DEP_1) | instskip(SKIP_1) | instid1(VALU_DEP_1)
	v_lshlrev_b64_e32 v[18:19], s10, v[2:3]
	s_add_nc_u64 s[10:11], s[10:11], 8
	v_or_b32_e32 v16, v18, v16
	s_delay_alu instid0(VALU_DEP_2)
	v_or_b32_e32 v17, v19, v17
	s_cbranch_scc1 .LBB2_60
.LBB2_61:                               ;   in Loop: Header=BB2_29 Depth=1
	s_wait_xcnt 0x0
	s_mov_b64 s[10:11], s[2:3]
	s_mov_b32 s14, 0
	s_cbranch_execz .LBB2_63
	s_branch .LBB2_64
.LBB2_62:                               ;   in Loop: Header=BB2_29 Depth=1
	s_wait_xcnt 0x0
	s_add_nc_u64 s[10:11], s[2:3], 8
	s_mov_b32 s14, 0
.LBB2_63:                               ;   in Loop: Header=BB2_29 Depth=1
	global_load_b64 v[16:17], v3, s[2:3]
	s_add_co_i32 s14, s15, -8
.LBB2_64:                               ;   in Loop: Header=BB2_29 Depth=1
	s_delay_alu instid0(SALU_CYCLE_1)
	s_cmp_gt_u32 s14, 7
	s_cbranch_scc1 .LBB2_69
; %bb.65:                               ;   in Loop: Header=BB2_29 Depth=1
	v_mov_b64_e32 v[18:19], 0
	s_cmp_eq_u32 s14, 0
	s_cbranch_scc1 .LBB2_68
; %bb.66:                               ;   in Loop: Header=BB2_29 Depth=1
	s_wait_xcnt 0x0
	s_mov_b64 s[2:3], 0
	s_mov_b64 s[12:13], 0
.LBB2_67:                               ;   Parent Loop BB2_29 Depth=1
                                        ; =>  This Inner Loop Header: Depth=2
	s_wait_xcnt 0x0
	s_add_nc_u64 s[16:17], s[10:11], s[12:13]
	s_add_nc_u64 s[12:13], s[12:13], 1
	global_load_u8 v2, v3, s[16:17]
	s_cmp_lg_u32 s14, s12
	s_wait_loadcnt 0x0
	v_and_b32_e32 v2, 0xffff, v2
	s_delay_alu instid0(VALU_DEP_1) | instskip(SKIP_1) | instid1(VALU_DEP_1)
	v_lshlrev_b64_e32 v[20:21], s2, v[2:3]
	s_add_nc_u64 s[2:3], s[2:3], 8
	v_or_b32_e32 v18, v20, v18
	s_delay_alu instid0(VALU_DEP_2)
	v_or_b32_e32 v19, v21, v19
	s_cbranch_scc1 .LBB2_67
.LBB2_68:                               ;   in Loop: Header=BB2_29 Depth=1
	s_wait_xcnt 0x0
	s_mov_b64 s[2:3], s[10:11]
	s_mov_b32 s15, 0
	s_cbranch_execz .LBB2_70
	s_branch .LBB2_71
.LBB2_69:                               ;   in Loop: Header=BB2_29 Depth=1
	s_wait_xcnt 0x0
	s_add_nc_u64 s[2:3], s[10:11], 8
                                        ; implicit-def: $vgpr18_vgpr19
	s_mov_b32 s15, 0
.LBB2_70:                               ;   in Loop: Header=BB2_29 Depth=1
	global_load_b64 v[18:19], v3, s[10:11]
	s_add_co_i32 s15, s14, -8
.LBB2_71:                               ;   in Loop: Header=BB2_29 Depth=1
	s_delay_alu instid0(SALU_CYCLE_1)
	s_cmp_gt_u32 s15, 7
	s_cbranch_scc1 .LBB2_76
; %bb.72:                               ;   in Loop: Header=BB2_29 Depth=1
	v_mov_b64_e32 v[20:21], 0
	s_cmp_eq_u32 s15, 0
	s_cbranch_scc1 .LBB2_75
; %bb.73:                               ;   in Loop: Header=BB2_29 Depth=1
	s_wait_xcnt 0x0
	s_mov_b64 s[10:11], 0
	s_mov_b64 s[12:13], s[2:3]
.LBB2_74:                               ;   Parent Loop BB2_29 Depth=1
                                        ; =>  This Inner Loop Header: Depth=2
	global_load_u8 v2, v3, s[12:13]
	s_add_co_i32 s15, s15, -1
	s_wait_xcnt 0x0
	s_add_nc_u64 s[12:13], s[12:13], 1
	s_cmp_lg_u32 s15, 0
	s_wait_loadcnt 0x0
	v_and_b32_e32 v2, 0xffff, v2
	s_delay_alu instid0(VALU_DEP_1) | instskip(SKIP_1) | instid1(VALU_DEP_1)
	v_lshlrev_b64_e32 v[22:23], s10, v[2:3]
	s_add_nc_u64 s[10:11], s[10:11], 8
	v_or_b32_e32 v20, v22, v20
	s_delay_alu instid0(VALU_DEP_2)
	v_or_b32_e32 v21, v23, v21
	s_cbranch_scc1 .LBB2_74
.LBB2_75:                               ;   in Loop: Header=BB2_29 Depth=1
	s_wait_xcnt 0x0
	s_cbranch_execz .LBB2_77
	s_branch .LBB2_78
.LBB2_76:                               ;   in Loop: Header=BB2_29 Depth=1
	s_wait_xcnt 0x0
.LBB2_77:                               ;   in Loop: Header=BB2_29 Depth=1
	global_load_b64 v[20:21], v3, s[2:3]
.LBB2_78:                               ;   in Loop: Header=BB2_29 Depth=1
	s_wait_xcnt 0x0
	v_readfirstlane_b32 s2, v46
	v_mov_b64_e32 v[26:27], 0
	s_delay_alu instid0(VALU_DEP_2)
	v_cmp_eq_u32_e64 s2, s2, v46
	s_and_saveexec_b32 s3, s2
	s_cbranch_execz .LBB2_84
; %bb.79:                               ;   in Loop: Header=BB2_29 Depth=1
	global_load_b64 v[24:25], v3, s[20:21] offset:24 scope:SCOPE_SYS
	s_wait_loadcnt 0x0
	global_inv scope:SCOPE_SYS
	s_clause 0x1
	global_load_b64 v[22:23], v3, s[20:21] offset:40
	global_load_b64 v[26:27], v3, s[20:21]
	s_mov_b32 s10, exec_lo
	s_wait_loadcnt 0x1
	v_and_b32_e32 v22, v22, v24
	v_and_b32_e32 v23, v23, v25
	s_delay_alu instid0(VALU_DEP_1) | instskip(SKIP_1) | instid1(VALU_DEP_1)
	v_mul_u64_e32 v[22:23], 24, v[22:23]
	s_wait_loadcnt 0x0
	v_add_nc_u64_e32 v[22:23], v[26:27], v[22:23]
	global_load_b64 v[22:23], v[22:23], off scope:SCOPE_SYS
	s_wait_xcnt 0x0
	s_wait_loadcnt 0x0
	global_atomic_cmpswap_b64 v[26:27], v3, v[22:25], s[20:21] offset:24 th:TH_ATOMIC_RETURN scope:SCOPE_SYS
	s_wait_loadcnt 0x0
	global_inv scope:SCOPE_SYS
	s_wait_xcnt 0x0
	v_cmpx_ne_u64_e64 v[26:27], v[24:25]
	s_cbranch_execz .LBB2_83
; %bb.80:                               ;   in Loop: Header=BB2_29 Depth=1
	s_mov_b32 s11, 0
.LBB2_81:                               ;   Parent Loop BB2_29 Depth=1
                                        ; =>  This Inner Loop Header: Depth=2
	s_sleep 1
	s_clause 0x1
	global_load_b64 v[22:23], v3, s[20:21] offset:40
	global_load_b64 v[28:29], v3, s[20:21]
	v_mov_b64_e32 v[24:25], v[26:27]
	s_wait_loadcnt 0x1
	s_delay_alu instid0(VALU_DEP_1) | instskip(SKIP_1) | instid1(VALU_DEP_1)
	v_and_b32_e32 v2, v22, v24
	s_wait_loadcnt 0x0
	v_mad_nc_u64_u32 v[26:27], v2, 24, v[28:29]
	s_delay_alu instid0(VALU_DEP_3) | instskip(NEXT) | instid1(VALU_DEP_1)
	v_and_b32_e32 v2, v23, v25
	v_mad_u32 v27, v2, 24, v27
	global_load_b64 v[22:23], v[26:27], off scope:SCOPE_SYS
	s_wait_xcnt 0x0
	s_wait_loadcnt 0x0
	global_atomic_cmpswap_b64 v[26:27], v3, v[22:25], s[20:21] offset:24 th:TH_ATOMIC_RETURN scope:SCOPE_SYS
	s_wait_loadcnt 0x0
	global_inv scope:SCOPE_SYS
	v_cmp_eq_u64_e32 vcc_lo, v[26:27], v[24:25]
	s_or_b32 s11, vcc_lo, s11
	s_wait_xcnt 0x0
	s_and_not1_b32 exec_lo, exec_lo, s11
	s_cbranch_execnz .LBB2_81
; %bb.82:                               ;   in Loop: Header=BB2_29 Depth=1
	s_or_b32 exec_lo, exec_lo, s11
.LBB2_83:                               ;   in Loop: Header=BB2_29 Depth=1
	s_delay_alu instid0(SALU_CYCLE_1)
	s_or_b32 exec_lo, exec_lo, s10
.LBB2_84:                               ;   in Loop: Header=BB2_29 Depth=1
	s_delay_alu instid0(SALU_CYCLE_1)
	s_or_b32 exec_lo, exec_lo, s3
	s_clause 0x1
	global_load_b64 v[28:29], v3, s[20:21] offset:40
	global_load_b128 v[22:25], v3, s[20:21]
	v_readfirstlane_b32 s10, v26
	v_readfirstlane_b32 s11, v27
	s_mov_b32 s3, exec_lo
	s_wait_loadcnt 0x1
	v_and_b32_e32 v28, s10, v28
	v_and_b32_e32 v29, s11, v29
	s_delay_alu instid0(VALU_DEP_1) | instskip(SKIP_1) | instid1(VALU_DEP_1)
	v_mul_u64_e32 v[26:27], 24, v[28:29]
	s_wait_loadcnt 0x0
	v_add_nc_u64_e32 v[26:27], v[22:23], v[26:27]
	s_wait_xcnt 0x0
	s_and_saveexec_b32 s12, s2
	s_cbranch_execz .LBB2_86
; %bb.85:                               ;   in Loop: Header=BB2_29 Depth=1
	v_mov_b32_e32 v2, s3
	global_store_b128 v[26:27], v[2:5], off offset:8
.LBB2_86:                               ;   in Loop: Header=BB2_29 Depth=1
	s_wait_xcnt 0x0
	s_or_b32 exec_lo, exec_lo, s12
	v_cmp_gt_u64_e64 s3, s[6:7], 56
	v_lshlrev_b64_e32 v[28:29], 12, v[28:29]
	v_and_b32_e32 v2, 0xffffff1f, v6
	s_and_b32 s3, s3, exec_lo
	s_delay_alu instid0(VALU_DEP_2) | instskip(SKIP_4) | instid1(VALU_DEP_2)
	v_add_nc_u64_e32 v[24:25], v[24:25], v[28:29]
	s_cselect_b32 s3, 0, 2
	s_lshl_b32 s12, s8, 2
	v_or_b32_e32 v2, s3, v2
	s_add_co_i32 s3, s12, 28
	v_readfirstlane_b32 s12, v24
	s_delay_alu instid0(VALU_DEP_3) | instskip(NEXT) | instid1(VALU_DEP_3)
	v_readfirstlane_b32 s13, v25
	v_and_or_b32 v6, 0x1e0, s3, v2
	s_clause 0x3
	global_store_b128 v38, v[6:9], s[12:13]
	global_store_b128 v38, v[10:13], s[12:13] offset:16
	global_store_b128 v38, v[14:17], s[12:13] offset:32
	;; [unrolled: 1-line block ×3, first 2 shown]
	s_wait_xcnt 0x0
	s_and_saveexec_b32 s3, s2
	s_cbranch_execz .LBB2_94
; %bb.87:                               ;   in Loop: Header=BB2_29 Depth=1
	s_clause 0x1
	global_load_b64 v[14:15], v3, s[20:21] offset:32 scope:SCOPE_SYS
	global_load_b64 v[6:7], v3, s[20:21] offset:40
	s_mov_b32 s12, exec_lo
	v_dual_mov_b32 v12, s10 :: v_dual_mov_b32 v13, s11
	s_wait_loadcnt 0x0
	v_and_b32_e32 v7, s11, v7
	v_and_b32_e32 v6, s10, v6
	s_delay_alu instid0(VALU_DEP_1) | instskip(NEXT) | instid1(VALU_DEP_1)
	v_mul_u64_e32 v[6:7], 24, v[6:7]
	v_add_nc_u64_e32 v[10:11], v[22:23], v[6:7]
	global_store_b64 v[10:11], v[14:15], off
	global_wb scope:SCOPE_SYS
	s_wait_storecnt 0x0
	s_wait_xcnt 0x0
	global_atomic_cmpswap_b64 v[8:9], v3, v[12:15], s[20:21] offset:32 th:TH_ATOMIC_RETURN scope:SCOPE_SYS
	s_wait_loadcnt 0x0
	v_cmpx_ne_u64_e64 v[8:9], v[14:15]
	s_cbranch_execz .LBB2_90
; %bb.88:                               ;   in Loop: Header=BB2_29 Depth=1
	s_mov_b32 s13, 0
.LBB2_89:                               ;   Parent Loop BB2_29 Depth=1
                                        ; =>  This Inner Loop Header: Depth=2
	v_dual_mov_b32 v6, s10 :: v_dual_mov_b32 v7, s11
	s_sleep 1
	global_store_b64 v[10:11], v[8:9], off
	global_wb scope:SCOPE_SYS
	s_wait_storecnt 0x0
	s_wait_xcnt 0x0
	global_atomic_cmpswap_b64 v[6:7], v3, v[6:9], s[20:21] offset:32 th:TH_ATOMIC_RETURN scope:SCOPE_SYS
	s_wait_loadcnt 0x0
	v_cmp_eq_u64_e32 vcc_lo, v[6:7], v[8:9]
	v_mov_b64_e32 v[8:9], v[6:7]
	s_or_b32 s13, vcc_lo, s13
	s_delay_alu instid0(SALU_CYCLE_1)
	s_and_not1_b32 exec_lo, exec_lo, s13
	s_cbranch_execnz .LBB2_89
.LBB2_90:                               ;   in Loop: Header=BB2_29 Depth=1
	s_or_b32 exec_lo, exec_lo, s12
	global_load_b64 v[6:7], v3, s[20:21] offset:16
	s_mov_b32 s13, exec_lo
	s_mov_b32 s12, exec_lo
	v_mbcnt_lo_u32_b32 v2, s13, 0
	s_wait_xcnt 0x0
	s_delay_alu instid0(VALU_DEP_1)
	v_cmpx_eq_u32_e32 0, v2
	s_cbranch_execz .LBB2_92
; %bb.91:                               ;   in Loop: Header=BB2_29 Depth=1
	s_bcnt1_i32_b32 s13, s13
	s_delay_alu instid0(SALU_CYCLE_1)
	v_mov_b32_e32 v2, s13
	global_wb scope:SCOPE_SYS
	s_wait_loadcnt 0x0
	s_wait_storecnt 0x0
	global_atomic_add_u64 v[6:7], v[2:3], off offset:8 scope:SCOPE_SYS
.LBB2_92:                               ;   in Loop: Header=BB2_29 Depth=1
	s_wait_xcnt 0x0
	s_or_b32 exec_lo, exec_lo, s12
	s_wait_loadcnt 0x0
	global_load_b64 v[8:9], v[6:7], off offset:16
	s_wait_loadcnt 0x0
	v_cmp_eq_u64_e32 vcc_lo, 0, v[8:9]
	s_cbranch_vccnz .LBB2_94
; %bb.93:                               ;   in Loop: Header=BB2_29 Depth=1
	global_load_b32 v2, v[6:7], off offset:24
	s_wait_loadcnt 0x0
	v_readfirstlane_b32 s12, v2
	global_wb scope:SCOPE_SYS
	s_wait_storecnt 0x0
	s_wait_xcnt 0x0
	global_store_b64 v[8:9], v[2:3], off scope:SCOPE_SYS
	s_and_b32 m0, s12, 0xffffff
	s_sendmsg sendmsg(MSG_INTERRUPT)
.LBB2_94:                               ;   in Loop: Header=BB2_29 Depth=1
	s_wait_xcnt 0x0
	s_or_b32 exec_lo, exec_lo, s3
	v_mov_b32_e32 v39, v3
	s_delay_alu instid0(VALU_DEP_1)
	v_add_nc_u64_e32 v[6:7], v[24:25], v[38:39]
	s_branch .LBB2_98
.LBB2_95:                               ;   in Loop: Header=BB2_98 Depth=2
	s_wait_xcnt 0x0
	s_or_b32 exec_lo, exec_lo, s3
	s_delay_alu instid0(VALU_DEP_1)
	v_readfirstlane_b32 s3, v2
	s_cmp_eq_u32 s3, 0
	s_cbranch_scc1 .LBB2_97
; %bb.96:                               ;   in Loop: Header=BB2_98 Depth=2
	s_sleep 1
	s_cbranch_execnz .LBB2_98
	s_branch .LBB2_100
.LBB2_97:                               ;   in Loop: Header=BB2_29 Depth=1
	s_branch .LBB2_100
.LBB2_98:                               ;   Parent Loop BB2_29 Depth=1
                                        ; =>  This Inner Loop Header: Depth=2
	v_mov_b32_e32 v2, 1
	s_and_saveexec_b32 s3, s2
	s_cbranch_execz .LBB2_95
; %bb.99:                               ;   in Loop: Header=BB2_98 Depth=2
	global_load_b32 v2, v[26:27], off offset:20 scope:SCOPE_SYS
	s_wait_loadcnt 0x0
	global_inv scope:SCOPE_SYS
	v_and_b32_e32 v2, 1, v2
	s_branch .LBB2_95
.LBB2_100:                              ;   in Loop: Header=BB2_29 Depth=1
	global_load_b128 v[6:9], v[6:7], off
	s_wait_xcnt 0x0
	s_and_saveexec_b32 s12, s2
	s_cbranch_execz .LBB2_28
; %bb.101:                              ;   in Loop: Header=BB2_29 Depth=1
	s_wait_loadcnt 0x0
	s_clause 0x2
	global_load_b64 v[8:9], v3, s[20:21] offset:40
	global_load_b64 v[16:17], v3, s[20:21] offset:24 scope:SCOPE_SYS
	global_load_b64 v[10:11], v3, s[20:21]
	s_wait_loadcnt 0x2
	v_readfirstlane_b32 s14, v8
	v_readfirstlane_b32 s15, v9
	s_add_nc_u64 s[2:3], s[14:15], 1
	s_delay_alu instid0(SALU_CYCLE_1) | instskip(NEXT) | instid1(SALU_CYCLE_1)
	s_add_nc_u64 s[10:11], s[2:3], s[10:11]
	s_cmp_eq_u64 s[10:11], 0
	s_cselect_b32 s3, s3, s11
	s_cselect_b32 s2, s2, s10
	s_delay_alu instid0(SALU_CYCLE_1) | instskip(SKIP_1) | instid1(SALU_CYCLE_1)
	v_dual_mov_b32 v15, s3 :: v_dual_mov_b32 v14, s2
	s_and_b64 s[10:11], s[2:3], s[14:15]
	s_mul_u64 s[10:11], s[10:11], 24
	s_wait_loadcnt 0x0
	v_add_nc_u64_e32 v[12:13], s[10:11], v[10:11]
	global_store_b64 v[12:13], v[16:17], off
	global_wb scope:SCOPE_SYS
	s_wait_storecnt 0x0
	s_wait_xcnt 0x0
	global_atomic_cmpswap_b64 v[10:11], v3, v[14:17], s[20:21] offset:24 th:TH_ATOMIC_RETURN scope:SCOPE_SYS
	s_wait_loadcnt 0x0
	v_cmp_ne_u64_e32 vcc_lo, v[10:11], v[16:17]
	s_and_b32 exec_lo, exec_lo, vcc_lo
	s_cbranch_execz .LBB2_28
; %bb.102:                              ;   in Loop: Header=BB2_29 Depth=1
	s_mov_b32 s10, 0
.LBB2_103:                              ;   Parent Loop BB2_29 Depth=1
                                        ; =>  This Inner Loop Header: Depth=2
	v_dual_mov_b32 v8, s2 :: v_dual_mov_b32 v9, s3
	s_sleep 1
	global_store_b64 v[12:13], v[10:11], off
	global_wb scope:SCOPE_SYS
	s_wait_storecnt 0x0
	s_wait_xcnt 0x0
	global_atomic_cmpswap_b64 v[8:9], v3, v[8:11], s[20:21] offset:24 th:TH_ATOMIC_RETURN scope:SCOPE_SYS
	s_wait_loadcnt 0x0
	v_cmp_eq_u64_e32 vcc_lo, v[8:9], v[10:11]
	v_mov_b64_e32 v[10:11], v[8:9]
	s_or_b32 s10, vcc_lo, s10
	s_delay_alu instid0(SALU_CYCLE_1)
	s_and_not1_b32 exec_lo, exec_lo, s10
	s_cbranch_execnz .LBB2_103
	s_branch .LBB2_28
.LBB2_104:
	s_branch .LBB2_133
.LBB2_105:
	s_cbranch_execz .LBB2_133
; %bb.106:
	v_readfirstlane_b32 s2, v46
	s_wait_loadcnt 0x0
	v_mov_b64_e32 v[8:9], 0
	s_delay_alu instid0(VALU_DEP_2)
	v_cmp_eq_u32_e64 s2, s2, v46
	s_and_saveexec_b32 s3, s2
	s_cbranch_execz .LBB2_112
; %bb.107:
	v_mov_b32_e32 v2, 0
	s_mov_b32 s4, exec_lo
	global_load_b64 v[6:7], v2, s[20:21] offset:24 scope:SCOPE_SYS
	s_wait_loadcnt 0x0
	global_inv scope:SCOPE_SYS
	s_clause 0x1
	global_load_b64 v[4:5], v2, s[20:21] offset:40
	global_load_b64 v[8:9], v2, s[20:21]
	s_wait_loadcnt 0x1
	v_and_b32_e32 v4, v4, v6
	v_and_b32_e32 v5, v5, v7
	s_delay_alu instid0(VALU_DEP_1) | instskip(SKIP_1) | instid1(VALU_DEP_1)
	v_mul_u64_e32 v[4:5], 24, v[4:5]
	s_wait_loadcnt 0x0
	v_add_nc_u64_e32 v[4:5], v[8:9], v[4:5]
	global_load_b64 v[4:5], v[4:5], off scope:SCOPE_SYS
	s_wait_xcnt 0x0
	s_wait_loadcnt 0x0
	global_atomic_cmpswap_b64 v[8:9], v2, v[4:7], s[20:21] offset:24 th:TH_ATOMIC_RETURN scope:SCOPE_SYS
	s_wait_loadcnt 0x0
	global_inv scope:SCOPE_SYS
	s_wait_xcnt 0x0
	v_cmpx_ne_u64_e64 v[8:9], v[6:7]
	s_cbranch_execz .LBB2_111
; %bb.108:
	s_mov_b32 s5, 0
.LBB2_109:                              ; =>This Inner Loop Header: Depth=1
	s_sleep 1
	s_clause 0x1
	global_load_b64 v[4:5], v2, s[20:21] offset:40
	global_load_b64 v[10:11], v2, s[20:21]
	v_mov_b64_e32 v[6:7], v[8:9]
	s_wait_loadcnt 0x1
	s_delay_alu instid0(VALU_DEP_1) | instskip(SKIP_1) | instid1(VALU_DEP_1)
	v_and_b32_e32 v3, v4, v6
	s_wait_loadcnt 0x0
	v_mad_nc_u64_u32 v[8:9], v3, 24, v[10:11]
	s_delay_alu instid0(VALU_DEP_3) | instskip(NEXT) | instid1(VALU_DEP_1)
	v_and_b32_e32 v3, v5, v7
	v_mad_u32 v9, v3, 24, v9
	global_load_b64 v[4:5], v[8:9], off scope:SCOPE_SYS
	s_wait_xcnt 0x0
	s_wait_loadcnt 0x0
	global_atomic_cmpswap_b64 v[8:9], v2, v[4:7], s[20:21] offset:24 th:TH_ATOMIC_RETURN scope:SCOPE_SYS
	s_wait_loadcnt 0x0
	global_inv scope:SCOPE_SYS
	v_cmp_eq_u64_e32 vcc_lo, v[8:9], v[6:7]
	s_or_b32 s5, vcc_lo, s5
	s_wait_xcnt 0x0
	s_and_not1_b32 exec_lo, exec_lo, s5
	s_cbranch_execnz .LBB2_109
; %bb.110:
	s_or_b32 exec_lo, exec_lo, s5
.LBB2_111:
	s_delay_alu instid0(SALU_CYCLE_1)
	s_or_b32 exec_lo, exec_lo, s4
.LBB2_112:
	s_delay_alu instid0(SALU_CYCLE_1)
	s_or_b32 exec_lo, exec_lo, s3
	v_readfirstlane_b32 s4, v8
	v_mov_b32_e32 v2, 0
	v_readfirstlane_b32 s5, v9
	s_mov_b32 s3, exec_lo
	s_clause 0x1
	global_load_b64 v[10:11], v2, s[20:21] offset:40
	global_load_b128 v[4:7], v2, s[20:21]
	s_wait_loadcnt 0x1
	v_and_b32_e32 v10, s4, v10
	v_and_b32_e32 v11, s5, v11
	s_delay_alu instid0(VALU_DEP_1) | instskip(SKIP_1) | instid1(VALU_DEP_1)
	v_mul_u64_e32 v[8:9], 24, v[10:11]
	s_wait_loadcnt 0x0
	v_add_nc_u64_e32 v[8:9], v[4:5], v[8:9]
	s_wait_xcnt 0x0
	s_and_saveexec_b32 s6, s2
	s_cbranch_execz .LBB2_114
; %bb.113:
	v_mov_b64_e32 v[14:15], 0x100000002
	v_dual_mov_b32 v12, s3 :: v_dual_mov_b32 v13, v2
	global_store_b128 v[8:9], v[12:15], off offset:8
.LBB2_114:
	s_wait_xcnt 0x0
	s_or_b32 exec_lo, exec_lo, s6
	v_lshlrev_b64_e32 v[10:11], 12, v[10:11]
	s_mov_b32 s8, 0
	v_and_or_b32 v0, 0xffffff1d, v0, 34
	s_mov_b32 s10, s8
	s_mov_b32 s11, s8
	;; [unrolled: 1-line block ×3, first 2 shown]
	v_mov_b32_e32 v3, v2
	v_add_nc_u64_e32 v[6:7], v[6:7], v[10:11]
	v_mov_b64_e32 v[12:13], s[10:11]
	v_mov_b64_e32 v[10:11], s[8:9]
	s_delay_alu instid0(VALU_DEP_3) | instskip(NEXT) | instid1(VALU_DEP_4)
	v_readfirstlane_b32 s6, v6
	v_readfirstlane_b32 s7, v7
	s_clause 0x3
	global_store_b128 v38, v[0:3], s[6:7]
	global_store_b128 v38, v[10:13], s[6:7] offset:16
	global_store_b128 v38, v[10:13], s[6:7] offset:32
	;; [unrolled: 1-line block ×3, first 2 shown]
	s_wait_xcnt 0x0
	s_and_saveexec_b32 s3, s2
	s_cbranch_execz .LBB2_122
; %bb.115:
	v_dual_mov_b32 v6, 0 :: v_dual_mov_b32 v11, s5
	s_mov_b32 s6, exec_lo
	s_clause 0x1
	global_load_b64 v[12:13], v6, s[20:21] offset:32 scope:SCOPE_SYS
	global_load_b64 v[0:1], v6, s[20:21] offset:40
	s_wait_loadcnt 0x0
	v_dual_mov_b32 v10, s4 :: v_dual_bitop2_b32 v1, s5, v1 bitop3:0x40
	v_and_b32_e32 v0, s4, v0
	s_delay_alu instid0(VALU_DEP_1) | instskip(NEXT) | instid1(VALU_DEP_1)
	v_mul_u64_e32 v[0:1], 24, v[0:1]
	v_add_nc_u64_e32 v[4:5], v[4:5], v[0:1]
	global_store_b64 v[4:5], v[12:13], off
	global_wb scope:SCOPE_SYS
	s_wait_storecnt 0x0
	s_wait_xcnt 0x0
	global_atomic_cmpswap_b64 v[2:3], v6, v[10:13], s[20:21] offset:32 th:TH_ATOMIC_RETURN scope:SCOPE_SYS
	s_wait_loadcnt 0x0
	v_cmpx_ne_u64_e64 v[2:3], v[12:13]
	s_cbranch_execz .LBB2_118
; %bb.116:
	s_mov_b32 s7, 0
.LBB2_117:                              ; =>This Inner Loop Header: Depth=1
	v_dual_mov_b32 v0, s4 :: v_dual_mov_b32 v1, s5
	s_sleep 1
	global_store_b64 v[4:5], v[2:3], off
	global_wb scope:SCOPE_SYS
	s_wait_storecnt 0x0
	s_wait_xcnt 0x0
	global_atomic_cmpswap_b64 v[0:1], v6, v[0:3], s[20:21] offset:32 th:TH_ATOMIC_RETURN scope:SCOPE_SYS
	s_wait_loadcnt 0x0
	v_cmp_eq_u64_e32 vcc_lo, v[0:1], v[2:3]
	v_mov_b64_e32 v[2:3], v[0:1]
	s_or_b32 s7, vcc_lo, s7
	s_delay_alu instid0(SALU_CYCLE_1)
	s_and_not1_b32 exec_lo, exec_lo, s7
	s_cbranch_execnz .LBB2_117
.LBB2_118:
	s_or_b32 exec_lo, exec_lo, s6
	v_mov_b32_e32 v3, 0
	s_mov_b32 s7, exec_lo
	s_mov_b32 s6, exec_lo
	v_mbcnt_lo_u32_b32 v2, s7, 0
	global_load_b64 v[0:1], v3, s[20:21] offset:16
	s_wait_xcnt 0x0
	v_cmpx_eq_u32_e32 0, v2
	s_cbranch_execz .LBB2_120
; %bb.119:
	s_bcnt1_i32_b32 s7, s7
	s_delay_alu instid0(SALU_CYCLE_1)
	v_mov_b32_e32 v2, s7
	global_wb scope:SCOPE_SYS
	s_wait_loadcnt 0x0
	s_wait_storecnt 0x0
	global_atomic_add_u64 v[0:1], v[2:3], off offset:8 scope:SCOPE_SYS
.LBB2_120:
	s_wait_xcnt 0x0
	s_or_b32 exec_lo, exec_lo, s6
	s_wait_loadcnt 0x0
	global_load_b64 v[2:3], v[0:1], off offset:16
	s_wait_loadcnt 0x0
	v_cmp_eq_u64_e32 vcc_lo, 0, v[2:3]
	s_cbranch_vccnz .LBB2_122
; %bb.121:
	global_load_b32 v0, v[0:1], off offset:24
	s_wait_xcnt 0x0
	v_mov_b32_e32 v1, 0
	s_wait_loadcnt 0x0
	v_readfirstlane_b32 s6, v0
	global_wb scope:SCOPE_SYS
	s_wait_storecnt 0x0
	global_store_b64 v[2:3], v[0:1], off scope:SCOPE_SYS
	s_and_b32 m0, s6, 0xffffff
	s_sendmsg sendmsg(MSG_INTERRUPT)
.LBB2_122:
	s_wait_xcnt 0x0
	s_or_b32 exec_lo, exec_lo, s3
	s_branch .LBB2_126
.LBB2_123:                              ;   in Loop: Header=BB2_126 Depth=1
	s_wait_xcnt 0x0
	s_or_b32 exec_lo, exec_lo, s3
	s_delay_alu instid0(VALU_DEP_1)
	v_readfirstlane_b32 s3, v0
	s_cmp_eq_u32 s3, 0
	s_cbranch_scc1 .LBB2_125
; %bb.124:                              ;   in Loop: Header=BB2_126 Depth=1
	s_sleep 1
	s_cbranch_execnz .LBB2_126
	s_branch .LBB2_128
.LBB2_125:
	s_branch .LBB2_128
.LBB2_126:                              ; =>This Inner Loop Header: Depth=1
	v_mov_b32_e32 v0, 1
	s_and_saveexec_b32 s3, s2
	s_cbranch_execz .LBB2_123
; %bb.127:                              ;   in Loop: Header=BB2_126 Depth=1
	global_load_b32 v0, v[8:9], off offset:20 scope:SCOPE_SYS
	s_wait_loadcnt 0x0
	global_inv scope:SCOPE_SYS
	v_and_b32_e32 v0, 1, v0
	s_branch .LBB2_123
.LBB2_128:
	s_and_saveexec_b32 s6, s2
	s_cbranch_execz .LBB2_132
; %bb.129:
	v_mov_b32_e32 v6, 0
	s_clause 0x2
	global_load_b64 v[0:1], v6, s[20:21] offset:40
	global_load_b64 v[10:11], v6, s[20:21] offset:24 scope:SCOPE_SYS
	global_load_b64 v[2:3], v6, s[20:21]
	s_wait_loadcnt 0x2
	v_readfirstlane_b32 s8, v0
	v_readfirstlane_b32 s9, v1
	s_add_nc_u64 s[2:3], s[8:9], 1
	s_delay_alu instid0(SALU_CYCLE_1) | instskip(NEXT) | instid1(SALU_CYCLE_1)
	s_add_nc_u64 s[4:5], s[2:3], s[4:5]
	s_cmp_eq_u64 s[4:5], 0
	s_cselect_b32 s3, s3, s5
	s_cselect_b32 s2, s2, s4
	v_mov_b32_e32 v9, s3
	s_and_b64 s[4:5], s[2:3], s[8:9]
	v_mov_b32_e32 v8, s2
	s_mul_u64 s[4:5], s[4:5], 24
	s_wait_loadcnt 0x0
	v_add_nc_u64_e32 v[4:5], s[4:5], v[2:3]
	global_store_b64 v[4:5], v[10:11], off
	global_wb scope:SCOPE_SYS
	s_wait_storecnt 0x0
	s_wait_xcnt 0x0
	global_atomic_cmpswap_b64 v[2:3], v6, v[8:11], s[20:21] offset:24 th:TH_ATOMIC_RETURN scope:SCOPE_SYS
	s_wait_loadcnt 0x0
	v_cmp_ne_u64_e32 vcc_lo, v[2:3], v[10:11]
	s_and_b32 exec_lo, exec_lo, vcc_lo
	s_cbranch_execz .LBB2_132
; %bb.130:
	s_mov_b32 s4, 0
.LBB2_131:                              ; =>This Inner Loop Header: Depth=1
	v_dual_mov_b32 v0, s2 :: v_dual_mov_b32 v1, s3
	s_sleep 1
	global_store_b64 v[4:5], v[2:3], off
	global_wb scope:SCOPE_SYS
	s_wait_storecnt 0x0
	s_wait_xcnt 0x0
	global_atomic_cmpswap_b64 v[0:1], v6, v[0:3], s[20:21] offset:24 th:TH_ATOMIC_RETURN scope:SCOPE_SYS
	s_wait_loadcnt 0x0
	v_cmp_eq_u64_e32 vcc_lo, v[0:1], v[2:3]
	v_mov_b64_e32 v[2:3], v[0:1]
	s_or_b32 s4, vcc_lo, s4
	s_delay_alu instid0(SALU_CYCLE_1)
	s_and_not1_b32 exec_lo, exec_lo, s4
	s_cbranch_execnz .LBB2_131
.LBB2_132:
	s_or_b32 exec_lo, exec_lo, s6
.LBB2_133:
	v_readfirstlane_b32 s2, v46
	v_mov_b64_e32 v[4:5], 0
	s_delay_alu instid0(VALU_DEP_2)
	v_cmp_eq_u32_e64 s2, s2, v46
	s_and_saveexec_b32 s3, s2
	s_cbranch_execz .LBB2_139
; %bb.134:
	s_wait_loadcnt 0x0
	v_mov_b32_e32 v0, 0
	s_mov_b32 s4, exec_lo
	global_load_b64 v[6:7], v0, s[20:21] offset:24 scope:SCOPE_SYS
	s_wait_loadcnt 0x0
	global_inv scope:SCOPE_SYS
	s_clause 0x1
	global_load_b64 v[2:3], v0, s[20:21] offset:40
	global_load_b64 v[4:5], v0, s[20:21]
	s_wait_loadcnt 0x1
	v_and_b32_e32 v2, v2, v6
	v_and_b32_e32 v3, v3, v7
	s_delay_alu instid0(VALU_DEP_1) | instskip(SKIP_1) | instid1(VALU_DEP_1)
	v_mul_u64_e32 v[2:3], 24, v[2:3]
	s_wait_loadcnt 0x0
	v_add_nc_u64_e32 v[2:3], v[4:5], v[2:3]
	global_load_b64 v[4:5], v[2:3], off scope:SCOPE_SYS
	s_wait_xcnt 0x0
	s_wait_loadcnt 0x0
	global_atomic_cmpswap_b64 v[4:5], v0, v[4:7], s[20:21] offset:24 th:TH_ATOMIC_RETURN scope:SCOPE_SYS
	s_wait_loadcnt 0x0
	global_inv scope:SCOPE_SYS
	s_wait_xcnt 0x0
	v_cmpx_ne_u64_e64 v[4:5], v[6:7]
	s_cbranch_execz .LBB2_138
; %bb.135:
	s_mov_b32 s5, 0
.LBB2_136:                              ; =>This Inner Loop Header: Depth=1
	s_sleep 1
	s_clause 0x1
	global_load_b64 v[2:3], v0, s[20:21] offset:40
	global_load_b64 v[8:9], v0, s[20:21]
	v_mov_b64_e32 v[6:7], v[4:5]
	s_wait_loadcnt 0x1
	s_delay_alu instid0(VALU_DEP_1) | instskip(SKIP_1) | instid1(VALU_DEP_1)
	v_and_b32_e32 v1, v2, v6
	s_wait_loadcnt 0x0
	v_mad_nc_u64_u32 v[4:5], v1, 24, v[8:9]
	s_delay_alu instid0(VALU_DEP_3) | instskip(NEXT) | instid1(VALU_DEP_1)
	v_and_b32_e32 v1, v3, v7
	v_mad_u32 v5, v1, 24, v5
	global_load_b64 v[4:5], v[4:5], off scope:SCOPE_SYS
	s_wait_xcnt 0x0
	s_wait_loadcnt 0x0
	global_atomic_cmpswap_b64 v[4:5], v0, v[4:7], s[20:21] offset:24 th:TH_ATOMIC_RETURN scope:SCOPE_SYS
	s_wait_loadcnt 0x0
	global_inv scope:SCOPE_SYS
	v_cmp_eq_u64_e32 vcc_lo, v[4:5], v[6:7]
	s_or_b32 s5, vcc_lo, s5
	s_wait_xcnt 0x0
	s_and_not1_b32 exec_lo, exec_lo, s5
	s_cbranch_execnz .LBB2_136
; %bb.137:
	s_or_b32 exec_lo, exec_lo, s5
.LBB2_138:
	s_delay_alu instid0(SALU_CYCLE_1)
	s_or_b32 exec_lo, exec_lo, s4
.LBB2_139:
	s_delay_alu instid0(SALU_CYCLE_1)
	s_or_b32 exec_lo, exec_lo, s3
	v_readfirstlane_b32 s4, v4
	v_mov_b32_e32 v39, 0
	v_readfirstlane_b32 s5, v5
	s_mov_b32 s3, exec_lo
	s_wait_loadcnt 0x0
	s_clause 0x1
	global_load_b64 v[6:7], v39, s[20:21] offset:40
	global_load_b128 v[0:3], v39, s[20:21]
	s_wait_loadcnt 0x1
	v_and_b32_e32 v6, s4, v6
	v_and_b32_e32 v7, s5, v7
	s_delay_alu instid0(VALU_DEP_1) | instskip(SKIP_1) | instid1(VALU_DEP_1)
	v_mul_u64_e32 v[4:5], 24, v[6:7]
	s_wait_loadcnt 0x0
	v_add_nc_u64_e32 v[4:5], v[0:1], v[4:5]
	s_wait_xcnt 0x0
	s_and_saveexec_b32 s6, s2
	s_cbranch_execz .LBB2_141
; %bb.140:
	v_mov_b64_e32 v[10:11], 0x100000002
	v_dual_mov_b32 v8, s3 :: v_dual_mov_b32 v9, v39
	global_store_b128 v[4:5], v[8:11], off offset:8
.LBB2_141:
	s_wait_xcnt 0x0
	s_or_b32 exec_lo, exec_lo, s6
	v_lshlrev_b64_e32 v[6:7], 12, v[6:7]
	s_mov_b32 s8, 0
	v_dual_mov_b32 v8, 33 :: v_dual_mov_b32 v9, v39
	s_mov_b32 s10, s8
	s_mov_b32 s11, s8
	;; [unrolled: 1-line block ×3, first 2 shown]
	s_delay_alu instid0(VALU_DEP_2) | instskip(SKIP_3) | instid1(VALU_DEP_4)
	v_add_nc_u64_e32 v[6:7], v[2:3], v[6:7]
	v_mov_b64_e32 v[14:15], s[10:11]
	v_mov_b64_e32 v[12:13], s[8:9]
	v_dual_mov_b32 v10, v39 :: v_dual_mov_b32 v11, v39
	v_readfirstlane_b32 s6, v6
	v_readfirstlane_b32 s7, v7
	s_clause 0x3
	global_store_b128 v38, v[8:11], s[6:7]
	global_store_b128 v38, v[12:15], s[6:7] offset:16
	global_store_b128 v38, v[12:15], s[6:7] offset:32
	;; [unrolled: 1-line block ×3, first 2 shown]
	s_wait_xcnt 0x0
	s_and_saveexec_b32 s3, s2
	s_cbranch_execz .LBB2_149
; %bb.142:
	v_dual_mov_b32 v10, 0 :: v_dual_mov_b32 v13, s5
	s_mov_b32 s6, exec_lo
	s_clause 0x1
	global_load_b64 v[14:15], v10, s[20:21] offset:32 scope:SCOPE_SYS
	global_load_b64 v[2:3], v10, s[20:21] offset:40
	s_wait_loadcnt 0x0
	v_dual_mov_b32 v12, s4 :: v_dual_bitop2_b32 v3, s5, v3 bitop3:0x40
	v_and_b32_e32 v2, s4, v2
	s_delay_alu instid0(VALU_DEP_1) | instskip(NEXT) | instid1(VALU_DEP_1)
	v_mul_u64_e32 v[2:3], 24, v[2:3]
	v_add_nc_u64_e32 v[8:9], v[0:1], v[2:3]
	global_store_b64 v[8:9], v[14:15], off
	global_wb scope:SCOPE_SYS
	s_wait_storecnt 0x0
	s_wait_xcnt 0x0
	global_atomic_cmpswap_b64 v[2:3], v10, v[12:15], s[20:21] offset:32 th:TH_ATOMIC_RETURN scope:SCOPE_SYS
	s_wait_loadcnt 0x0
	v_cmpx_ne_u64_e64 v[2:3], v[14:15]
	s_cbranch_execz .LBB2_145
; %bb.143:
	s_mov_b32 s7, 0
.LBB2_144:                              ; =>This Inner Loop Header: Depth=1
	v_dual_mov_b32 v0, s4 :: v_dual_mov_b32 v1, s5
	s_sleep 1
	global_store_b64 v[8:9], v[2:3], off
	global_wb scope:SCOPE_SYS
	s_wait_storecnt 0x0
	s_wait_xcnt 0x0
	global_atomic_cmpswap_b64 v[0:1], v10, v[0:3], s[20:21] offset:32 th:TH_ATOMIC_RETURN scope:SCOPE_SYS
	s_wait_loadcnt 0x0
	v_cmp_eq_u64_e32 vcc_lo, v[0:1], v[2:3]
	v_mov_b64_e32 v[2:3], v[0:1]
	s_or_b32 s7, vcc_lo, s7
	s_delay_alu instid0(SALU_CYCLE_1)
	s_and_not1_b32 exec_lo, exec_lo, s7
	s_cbranch_execnz .LBB2_144
.LBB2_145:
	s_or_b32 exec_lo, exec_lo, s6
	v_mov_b32_e32 v3, 0
	s_mov_b32 s7, exec_lo
	s_mov_b32 s6, exec_lo
	v_mbcnt_lo_u32_b32 v2, s7, 0
	global_load_b64 v[0:1], v3, s[20:21] offset:16
	s_wait_xcnt 0x0
	v_cmpx_eq_u32_e32 0, v2
	s_cbranch_execz .LBB2_147
; %bb.146:
	s_bcnt1_i32_b32 s7, s7
	s_delay_alu instid0(SALU_CYCLE_1)
	v_mov_b32_e32 v2, s7
	global_wb scope:SCOPE_SYS
	s_wait_loadcnt 0x0
	s_wait_storecnt 0x0
	global_atomic_add_u64 v[0:1], v[2:3], off offset:8 scope:SCOPE_SYS
.LBB2_147:
	s_wait_xcnt 0x0
	s_or_b32 exec_lo, exec_lo, s6
	s_wait_loadcnt 0x0
	global_load_b64 v[2:3], v[0:1], off offset:16
	s_wait_loadcnt 0x0
	v_cmp_eq_u64_e32 vcc_lo, 0, v[2:3]
	s_cbranch_vccnz .LBB2_149
; %bb.148:
	global_load_b32 v0, v[0:1], off offset:24
	s_wait_xcnt 0x0
	v_mov_b32_e32 v1, 0
	s_wait_loadcnt 0x0
	v_readfirstlane_b32 s6, v0
	global_wb scope:SCOPE_SYS
	s_wait_storecnt 0x0
	global_store_b64 v[2:3], v[0:1], off scope:SCOPE_SYS
	s_and_b32 m0, s6, 0xffffff
	s_sendmsg sendmsg(MSG_INTERRUPT)
.LBB2_149:
	s_wait_xcnt 0x0
	s_or_b32 exec_lo, exec_lo, s3
	v_add_nc_u64_e32 v[0:1], v[6:7], v[38:39]
	s_branch .LBB2_153
.LBB2_150:                              ;   in Loop: Header=BB2_153 Depth=1
	s_wait_xcnt 0x0
	s_or_b32 exec_lo, exec_lo, s3
	s_delay_alu instid0(VALU_DEP_1)
	v_readfirstlane_b32 s3, v2
	s_cmp_eq_u32 s3, 0
	s_cbranch_scc1 .LBB2_152
; %bb.151:                              ;   in Loop: Header=BB2_153 Depth=1
	s_sleep 1
	s_cbranch_execnz .LBB2_153
	s_branch .LBB2_155
.LBB2_152:
	s_branch .LBB2_155
.LBB2_153:                              ; =>This Inner Loop Header: Depth=1
	v_mov_b32_e32 v2, 1
	s_and_saveexec_b32 s3, s2
	s_cbranch_execz .LBB2_150
; %bb.154:                              ;   in Loop: Header=BB2_153 Depth=1
	global_load_b32 v2, v[4:5], off offset:20 scope:SCOPE_SYS
	s_wait_loadcnt 0x0
	global_inv scope:SCOPE_SYS
	v_and_b32_e32 v2, 1, v2
	s_branch .LBB2_150
.LBB2_155:
	global_load_b64 v[0:1], v[0:1], off
	s_wait_xcnt 0x0
	s_and_saveexec_b32 s6, s2
	s_cbranch_execz .LBB2_159
; %bb.156:
	v_mov_b32_e32 v8, 0
	s_clause 0x2
	global_load_b64 v[2:3], v8, s[20:21] offset:40
	global_load_b64 v[12:13], v8, s[20:21] offset:24 scope:SCOPE_SYS
	global_load_b64 v[4:5], v8, s[20:21]
	s_wait_loadcnt 0x2
	v_readfirstlane_b32 s8, v2
	v_readfirstlane_b32 s9, v3
	s_add_nc_u64 s[2:3], s[8:9], 1
	s_delay_alu instid0(SALU_CYCLE_1) | instskip(NEXT) | instid1(SALU_CYCLE_1)
	s_add_nc_u64 s[4:5], s[2:3], s[4:5]
	s_cmp_eq_u64 s[4:5], 0
	s_cselect_b32 s3, s3, s5
	s_cselect_b32 s2, s2, s4
	v_mov_b32_e32 v11, s3
	s_and_b64 s[4:5], s[2:3], s[8:9]
	v_mov_b32_e32 v10, s2
	s_mul_u64 s[4:5], s[4:5], 24
	s_wait_loadcnt 0x0
	v_add_nc_u64_e32 v[6:7], s[4:5], v[4:5]
	global_store_b64 v[6:7], v[12:13], off
	global_wb scope:SCOPE_SYS
	s_wait_storecnt 0x0
	s_wait_xcnt 0x0
	global_atomic_cmpswap_b64 v[4:5], v8, v[10:13], s[20:21] offset:24 th:TH_ATOMIC_RETURN scope:SCOPE_SYS
	s_wait_loadcnt 0x0
	v_cmp_ne_u64_e32 vcc_lo, v[4:5], v[12:13]
	s_and_b32 exec_lo, exec_lo, vcc_lo
	s_cbranch_execz .LBB2_159
; %bb.157:
	s_mov_b32 s4, 0
.LBB2_158:                              ; =>This Inner Loop Header: Depth=1
	v_dual_mov_b32 v2, s2 :: v_dual_mov_b32 v3, s3
	s_sleep 1
	global_store_b64 v[6:7], v[4:5], off
	global_wb scope:SCOPE_SYS
	s_wait_storecnt 0x0
	s_wait_xcnt 0x0
	global_atomic_cmpswap_b64 v[2:3], v8, v[2:5], s[20:21] offset:24 th:TH_ATOMIC_RETURN scope:SCOPE_SYS
	s_wait_loadcnt 0x0
	v_cmp_eq_u64_e32 vcc_lo, v[2:3], v[4:5]
	v_mov_b64_e32 v[4:5], v[2:3]
	s_or_b32 s4, vcc_lo, s4
	s_delay_alu instid0(SALU_CYCLE_1)
	s_and_not1_b32 exec_lo, exec_lo, s4
	s_cbranch_execnz .LBB2_158
.LBB2_159:
	s_or_b32 exec_lo, exec_lo, s6
	s_get_pc_i64 s[4:5]
	s_add_nc_u64 s[4:5], s[4:5], .str@rel64+4
	s_delay_alu instid0(SALU_CYCLE_1)
	s_cmp_lg_u64 s[4:5], 0
	s_cbranch_scc0 .LBB2_239
; %bb.160:
	v_mov_b64_e32 v[4:5], 0x100000002
	s_wait_loadcnt 0x0
	v_dual_mov_b32 v7, v1 :: v_dual_bitop2_b32 v6, -3, v0 bitop3:0x40
	v_mov_b32_e32 v3, 0
	s_mov_b64 s[6:7], 18
	s_branch .LBB2_162
.LBB2_161:                              ;   in Loop: Header=BB2_162 Depth=1
	s_or_b32 exec_lo, exec_lo, s12
	s_sub_nc_u64 s[6:7], s[6:7], s[8:9]
	s_add_nc_u64 s[4:5], s[4:5], s[8:9]
	s_cmp_lg_u64 s[6:7], 0
	s_cbranch_scc0 .LBB2_237
.LBB2_162:                              ; =>This Loop Header: Depth=1
                                        ;     Child Loop BB2_165 Depth 2
                                        ;     Child Loop BB2_172 Depth 2
	;; [unrolled: 1-line block ×11, first 2 shown]
	s_wait_loadcnt 0x0
	v_min_u64 v[8:9], s[6:7], 56
	v_cmp_gt_u64_e64 s2, s[6:7], 7
	s_and_b32 vcc_lo, exec_lo, s2
	v_readfirstlane_b32 s8, v8
	v_readfirstlane_b32 s9, v9
	s_cbranch_vccnz .LBB2_167
; %bb.163:                              ;   in Loop: Header=BB2_162 Depth=1
	v_mov_b64_e32 v[8:9], 0
	s_cmp_eq_u64 s[6:7], 0
	s_cbranch_scc1 .LBB2_166
; %bb.164:                              ;   in Loop: Header=BB2_162 Depth=1
	s_mov_b64 s[2:3], 0
	s_mov_b64 s[10:11], 0
.LBB2_165:                              ;   Parent Loop BB2_162 Depth=1
                                        ; =>  This Inner Loop Header: Depth=2
	s_wait_xcnt 0x0
	s_add_nc_u64 s[12:13], s[4:5], s[10:11]
	s_add_nc_u64 s[10:11], s[10:11], 1
	global_load_u8 v2, v3, s[12:13]
	s_cmp_lg_u32 s8, s10
	s_wait_loadcnt 0x0
	v_and_b32_e32 v2, 0xffff, v2
	s_delay_alu instid0(VALU_DEP_1) | instskip(SKIP_1) | instid1(VALU_DEP_1)
	v_lshlrev_b64_e32 v[10:11], s2, v[2:3]
	s_add_nc_u64 s[2:3], s[2:3], 8
	v_or_b32_e32 v8, v10, v8
	s_delay_alu instid0(VALU_DEP_2)
	v_or_b32_e32 v9, v11, v9
	s_cbranch_scc1 .LBB2_165
.LBB2_166:                              ;   in Loop: Header=BB2_162 Depth=1
	s_mov_b64 s[10:11], s[4:5]
	s_mov_b32 s14, 0
	s_cbranch_execz .LBB2_168
	s_branch .LBB2_169
.LBB2_167:                              ;   in Loop: Header=BB2_162 Depth=1
	s_add_nc_u64 s[10:11], s[4:5], 8
	s_mov_b32 s14, 0
.LBB2_168:                              ;   in Loop: Header=BB2_162 Depth=1
	global_load_b64 v[8:9], v3, s[4:5]
	s_add_co_i32 s14, s8, -8
.LBB2_169:                              ;   in Loop: Header=BB2_162 Depth=1
	s_delay_alu instid0(SALU_CYCLE_1)
	s_cmp_gt_u32 s14, 7
	s_cbranch_scc1 .LBB2_174
; %bb.170:                              ;   in Loop: Header=BB2_162 Depth=1
	v_mov_b64_e32 v[10:11], 0
	s_cmp_eq_u32 s14, 0
	s_cbranch_scc1 .LBB2_173
; %bb.171:                              ;   in Loop: Header=BB2_162 Depth=1
	s_mov_b64 s[2:3], 0
	s_wait_xcnt 0x0
	s_mov_b64 s[12:13], 0
.LBB2_172:                              ;   Parent Loop BB2_162 Depth=1
                                        ; =>  This Inner Loop Header: Depth=2
	s_wait_xcnt 0x0
	s_add_nc_u64 s[16:17], s[10:11], s[12:13]
	s_add_nc_u64 s[12:13], s[12:13], 1
	global_load_u8 v2, v3, s[16:17]
	s_cmp_lg_u32 s14, s12
	s_wait_loadcnt 0x0
	v_and_b32_e32 v2, 0xffff, v2
	s_delay_alu instid0(VALU_DEP_1) | instskip(SKIP_1) | instid1(VALU_DEP_1)
	v_lshlrev_b64_e32 v[12:13], s2, v[2:3]
	s_add_nc_u64 s[2:3], s[2:3], 8
	v_or_b32_e32 v10, v12, v10
	s_delay_alu instid0(VALU_DEP_2)
	v_or_b32_e32 v11, v13, v11
	s_cbranch_scc1 .LBB2_172
.LBB2_173:                              ;   in Loop: Header=BB2_162 Depth=1
	s_wait_xcnt 0x0
	s_mov_b64 s[2:3], s[10:11]
	s_mov_b32 s15, 0
	s_cbranch_execz .LBB2_175
	s_branch .LBB2_176
.LBB2_174:                              ;   in Loop: Header=BB2_162 Depth=1
	s_add_nc_u64 s[2:3], s[10:11], 8
	s_wait_xcnt 0x0
                                        ; implicit-def: $vgpr10_vgpr11
	s_mov_b32 s15, 0
.LBB2_175:                              ;   in Loop: Header=BB2_162 Depth=1
	global_load_b64 v[10:11], v3, s[10:11]
	s_add_co_i32 s15, s14, -8
.LBB2_176:                              ;   in Loop: Header=BB2_162 Depth=1
	s_delay_alu instid0(SALU_CYCLE_1)
	s_cmp_gt_u32 s15, 7
	s_cbranch_scc1 .LBB2_181
; %bb.177:                              ;   in Loop: Header=BB2_162 Depth=1
	v_mov_b64_e32 v[12:13], 0
	s_cmp_eq_u32 s15, 0
	s_cbranch_scc1 .LBB2_180
; %bb.178:                              ;   in Loop: Header=BB2_162 Depth=1
	s_wait_xcnt 0x0
	s_mov_b64 s[10:11], 0
	s_mov_b64 s[12:13], 0
.LBB2_179:                              ;   Parent Loop BB2_162 Depth=1
                                        ; =>  This Inner Loop Header: Depth=2
	s_wait_xcnt 0x0
	s_add_nc_u64 s[16:17], s[2:3], s[12:13]
	s_add_nc_u64 s[12:13], s[12:13], 1
	global_load_u8 v2, v3, s[16:17]
	s_cmp_lg_u32 s15, s12
	s_wait_loadcnt 0x0
	v_and_b32_e32 v2, 0xffff, v2
	s_delay_alu instid0(VALU_DEP_1) | instskip(SKIP_1) | instid1(VALU_DEP_1)
	v_lshlrev_b64_e32 v[14:15], s10, v[2:3]
	s_add_nc_u64 s[10:11], s[10:11], 8
	v_or_b32_e32 v12, v14, v12
	s_delay_alu instid0(VALU_DEP_2)
	v_or_b32_e32 v13, v15, v13
	s_cbranch_scc1 .LBB2_179
.LBB2_180:                              ;   in Loop: Header=BB2_162 Depth=1
	s_wait_xcnt 0x0
	s_mov_b64 s[10:11], s[2:3]
	s_mov_b32 s14, 0
	s_cbranch_execz .LBB2_182
	s_branch .LBB2_183
.LBB2_181:                              ;   in Loop: Header=BB2_162 Depth=1
	s_wait_xcnt 0x0
	s_add_nc_u64 s[10:11], s[2:3], 8
	s_mov_b32 s14, 0
.LBB2_182:                              ;   in Loop: Header=BB2_162 Depth=1
	global_load_b64 v[12:13], v3, s[2:3]
	s_add_co_i32 s14, s15, -8
.LBB2_183:                              ;   in Loop: Header=BB2_162 Depth=1
	s_delay_alu instid0(SALU_CYCLE_1)
	s_cmp_gt_u32 s14, 7
	s_cbranch_scc1 .LBB2_188
; %bb.184:                              ;   in Loop: Header=BB2_162 Depth=1
	v_mov_b64_e32 v[14:15], 0
	s_cmp_eq_u32 s14, 0
	s_cbranch_scc1 .LBB2_187
; %bb.185:                              ;   in Loop: Header=BB2_162 Depth=1
	s_wait_xcnt 0x0
	s_mov_b64 s[2:3], 0
	s_mov_b64 s[12:13], 0
.LBB2_186:                              ;   Parent Loop BB2_162 Depth=1
                                        ; =>  This Inner Loop Header: Depth=2
	s_wait_xcnt 0x0
	s_add_nc_u64 s[16:17], s[10:11], s[12:13]
	s_add_nc_u64 s[12:13], s[12:13], 1
	global_load_u8 v2, v3, s[16:17]
	s_cmp_lg_u32 s14, s12
	s_wait_loadcnt 0x0
	v_and_b32_e32 v2, 0xffff, v2
	s_delay_alu instid0(VALU_DEP_1) | instskip(SKIP_1) | instid1(VALU_DEP_1)
	v_lshlrev_b64_e32 v[16:17], s2, v[2:3]
	s_add_nc_u64 s[2:3], s[2:3], 8
	v_or_b32_e32 v14, v16, v14
	s_delay_alu instid0(VALU_DEP_2)
	v_or_b32_e32 v15, v17, v15
	s_cbranch_scc1 .LBB2_186
.LBB2_187:                              ;   in Loop: Header=BB2_162 Depth=1
	s_wait_xcnt 0x0
	s_mov_b64 s[2:3], s[10:11]
	s_mov_b32 s15, 0
	s_cbranch_execz .LBB2_189
	s_branch .LBB2_190
.LBB2_188:                              ;   in Loop: Header=BB2_162 Depth=1
	s_wait_xcnt 0x0
	s_add_nc_u64 s[2:3], s[10:11], 8
                                        ; implicit-def: $vgpr14_vgpr15
	s_mov_b32 s15, 0
.LBB2_189:                              ;   in Loop: Header=BB2_162 Depth=1
	global_load_b64 v[14:15], v3, s[10:11]
	s_add_co_i32 s15, s14, -8
.LBB2_190:                              ;   in Loop: Header=BB2_162 Depth=1
	s_delay_alu instid0(SALU_CYCLE_1)
	s_cmp_gt_u32 s15, 7
	s_cbranch_scc1 .LBB2_195
; %bb.191:                              ;   in Loop: Header=BB2_162 Depth=1
	v_mov_b64_e32 v[16:17], 0
	s_cmp_eq_u32 s15, 0
	s_cbranch_scc1 .LBB2_194
; %bb.192:                              ;   in Loop: Header=BB2_162 Depth=1
	s_wait_xcnt 0x0
	s_mov_b64 s[10:11], 0
	s_mov_b64 s[12:13], 0
.LBB2_193:                              ;   Parent Loop BB2_162 Depth=1
                                        ; =>  This Inner Loop Header: Depth=2
	s_wait_xcnt 0x0
	s_add_nc_u64 s[16:17], s[2:3], s[12:13]
	s_add_nc_u64 s[12:13], s[12:13], 1
	global_load_u8 v2, v3, s[16:17]
	s_cmp_lg_u32 s15, s12
	s_wait_loadcnt 0x0
	v_and_b32_e32 v2, 0xffff, v2
	s_delay_alu instid0(VALU_DEP_1) | instskip(SKIP_1) | instid1(VALU_DEP_1)
	v_lshlrev_b64_e32 v[18:19], s10, v[2:3]
	s_add_nc_u64 s[10:11], s[10:11], 8
	v_or_b32_e32 v16, v18, v16
	s_delay_alu instid0(VALU_DEP_2)
	v_or_b32_e32 v17, v19, v17
	s_cbranch_scc1 .LBB2_193
.LBB2_194:                              ;   in Loop: Header=BB2_162 Depth=1
	s_wait_xcnt 0x0
	s_mov_b64 s[10:11], s[2:3]
	s_mov_b32 s14, 0
	s_cbranch_execz .LBB2_196
	s_branch .LBB2_197
.LBB2_195:                              ;   in Loop: Header=BB2_162 Depth=1
	s_wait_xcnt 0x0
	s_add_nc_u64 s[10:11], s[2:3], 8
	s_mov_b32 s14, 0
.LBB2_196:                              ;   in Loop: Header=BB2_162 Depth=1
	global_load_b64 v[16:17], v3, s[2:3]
	s_add_co_i32 s14, s15, -8
.LBB2_197:                              ;   in Loop: Header=BB2_162 Depth=1
	s_delay_alu instid0(SALU_CYCLE_1)
	s_cmp_gt_u32 s14, 7
	s_cbranch_scc1 .LBB2_202
; %bb.198:                              ;   in Loop: Header=BB2_162 Depth=1
	v_mov_b64_e32 v[18:19], 0
	s_cmp_eq_u32 s14, 0
	s_cbranch_scc1 .LBB2_201
; %bb.199:                              ;   in Loop: Header=BB2_162 Depth=1
	s_wait_xcnt 0x0
	s_mov_b64 s[2:3], 0
	s_mov_b64 s[12:13], 0
.LBB2_200:                              ;   Parent Loop BB2_162 Depth=1
                                        ; =>  This Inner Loop Header: Depth=2
	s_wait_xcnt 0x0
	s_add_nc_u64 s[16:17], s[10:11], s[12:13]
	s_add_nc_u64 s[12:13], s[12:13], 1
	global_load_u8 v2, v3, s[16:17]
	s_cmp_lg_u32 s14, s12
	s_wait_loadcnt 0x0
	v_and_b32_e32 v2, 0xffff, v2
	s_delay_alu instid0(VALU_DEP_1) | instskip(SKIP_1) | instid1(VALU_DEP_1)
	v_lshlrev_b64_e32 v[20:21], s2, v[2:3]
	s_add_nc_u64 s[2:3], s[2:3], 8
	v_or_b32_e32 v18, v20, v18
	s_delay_alu instid0(VALU_DEP_2)
	v_or_b32_e32 v19, v21, v19
	s_cbranch_scc1 .LBB2_200
.LBB2_201:                              ;   in Loop: Header=BB2_162 Depth=1
	s_wait_xcnt 0x0
	s_mov_b64 s[2:3], s[10:11]
	s_mov_b32 s15, 0
	s_cbranch_execz .LBB2_203
	s_branch .LBB2_204
.LBB2_202:                              ;   in Loop: Header=BB2_162 Depth=1
	s_wait_xcnt 0x0
	s_add_nc_u64 s[2:3], s[10:11], 8
                                        ; implicit-def: $vgpr18_vgpr19
	s_mov_b32 s15, 0
.LBB2_203:                              ;   in Loop: Header=BB2_162 Depth=1
	global_load_b64 v[18:19], v3, s[10:11]
	s_add_co_i32 s15, s14, -8
.LBB2_204:                              ;   in Loop: Header=BB2_162 Depth=1
	s_delay_alu instid0(SALU_CYCLE_1)
	s_cmp_gt_u32 s15, 7
	s_cbranch_scc1 .LBB2_209
; %bb.205:                              ;   in Loop: Header=BB2_162 Depth=1
	v_mov_b64_e32 v[20:21], 0
	s_cmp_eq_u32 s15, 0
	s_cbranch_scc1 .LBB2_208
; %bb.206:                              ;   in Loop: Header=BB2_162 Depth=1
	s_wait_xcnt 0x0
	s_mov_b64 s[10:11], 0
	s_mov_b64 s[12:13], s[2:3]
.LBB2_207:                              ;   Parent Loop BB2_162 Depth=1
                                        ; =>  This Inner Loop Header: Depth=2
	global_load_u8 v2, v3, s[12:13]
	s_add_co_i32 s15, s15, -1
	s_wait_xcnt 0x0
	s_add_nc_u64 s[12:13], s[12:13], 1
	s_cmp_lg_u32 s15, 0
	s_wait_loadcnt 0x0
	v_and_b32_e32 v2, 0xffff, v2
	s_delay_alu instid0(VALU_DEP_1) | instskip(SKIP_1) | instid1(VALU_DEP_1)
	v_lshlrev_b64_e32 v[22:23], s10, v[2:3]
	s_add_nc_u64 s[10:11], s[10:11], 8
	v_or_b32_e32 v20, v22, v20
	s_delay_alu instid0(VALU_DEP_2)
	v_or_b32_e32 v21, v23, v21
	s_cbranch_scc1 .LBB2_207
.LBB2_208:                              ;   in Loop: Header=BB2_162 Depth=1
	s_wait_xcnt 0x0
	s_cbranch_execz .LBB2_210
	s_branch .LBB2_211
.LBB2_209:                              ;   in Loop: Header=BB2_162 Depth=1
	s_wait_xcnt 0x0
.LBB2_210:                              ;   in Loop: Header=BB2_162 Depth=1
	global_load_b64 v[20:21], v3, s[2:3]
.LBB2_211:                              ;   in Loop: Header=BB2_162 Depth=1
	s_wait_xcnt 0x0
	v_readfirstlane_b32 s2, v46
	v_mov_b64_e32 v[26:27], 0
	s_delay_alu instid0(VALU_DEP_2)
	v_cmp_eq_u32_e64 s2, s2, v46
	s_and_saveexec_b32 s3, s2
	s_cbranch_execz .LBB2_217
; %bb.212:                              ;   in Loop: Header=BB2_162 Depth=1
	global_load_b64 v[24:25], v3, s[20:21] offset:24 scope:SCOPE_SYS
	s_wait_loadcnt 0x0
	global_inv scope:SCOPE_SYS
	s_clause 0x1
	global_load_b64 v[22:23], v3, s[20:21] offset:40
	global_load_b64 v[26:27], v3, s[20:21]
	s_mov_b32 s10, exec_lo
	s_wait_loadcnt 0x1
	v_and_b32_e32 v22, v22, v24
	v_and_b32_e32 v23, v23, v25
	s_delay_alu instid0(VALU_DEP_1) | instskip(SKIP_1) | instid1(VALU_DEP_1)
	v_mul_u64_e32 v[22:23], 24, v[22:23]
	s_wait_loadcnt 0x0
	v_add_nc_u64_e32 v[22:23], v[26:27], v[22:23]
	global_load_b64 v[22:23], v[22:23], off scope:SCOPE_SYS
	s_wait_xcnt 0x0
	s_wait_loadcnt 0x0
	global_atomic_cmpswap_b64 v[26:27], v3, v[22:25], s[20:21] offset:24 th:TH_ATOMIC_RETURN scope:SCOPE_SYS
	s_wait_loadcnt 0x0
	global_inv scope:SCOPE_SYS
	s_wait_xcnt 0x0
	v_cmpx_ne_u64_e64 v[26:27], v[24:25]
	s_cbranch_execz .LBB2_216
; %bb.213:                              ;   in Loop: Header=BB2_162 Depth=1
	s_mov_b32 s11, 0
.LBB2_214:                              ;   Parent Loop BB2_162 Depth=1
                                        ; =>  This Inner Loop Header: Depth=2
	s_sleep 1
	s_clause 0x1
	global_load_b64 v[22:23], v3, s[20:21] offset:40
	global_load_b64 v[28:29], v3, s[20:21]
	v_mov_b64_e32 v[24:25], v[26:27]
	s_wait_loadcnt 0x1
	s_delay_alu instid0(VALU_DEP_1) | instskip(SKIP_1) | instid1(VALU_DEP_1)
	v_and_b32_e32 v2, v22, v24
	s_wait_loadcnt 0x0
	v_mad_nc_u64_u32 v[26:27], v2, 24, v[28:29]
	s_delay_alu instid0(VALU_DEP_3) | instskip(NEXT) | instid1(VALU_DEP_1)
	v_and_b32_e32 v2, v23, v25
	v_mad_u32 v27, v2, 24, v27
	global_load_b64 v[22:23], v[26:27], off scope:SCOPE_SYS
	s_wait_xcnt 0x0
	s_wait_loadcnt 0x0
	global_atomic_cmpswap_b64 v[26:27], v3, v[22:25], s[20:21] offset:24 th:TH_ATOMIC_RETURN scope:SCOPE_SYS
	s_wait_loadcnt 0x0
	global_inv scope:SCOPE_SYS
	v_cmp_eq_u64_e32 vcc_lo, v[26:27], v[24:25]
	s_or_b32 s11, vcc_lo, s11
	s_wait_xcnt 0x0
	s_and_not1_b32 exec_lo, exec_lo, s11
	s_cbranch_execnz .LBB2_214
; %bb.215:                              ;   in Loop: Header=BB2_162 Depth=1
	s_or_b32 exec_lo, exec_lo, s11
.LBB2_216:                              ;   in Loop: Header=BB2_162 Depth=1
	s_delay_alu instid0(SALU_CYCLE_1)
	s_or_b32 exec_lo, exec_lo, s10
.LBB2_217:                              ;   in Loop: Header=BB2_162 Depth=1
	s_delay_alu instid0(SALU_CYCLE_1)
	s_or_b32 exec_lo, exec_lo, s3
	s_clause 0x1
	global_load_b64 v[28:29], v3, s[20:21] offset:40
	global_load_b128 v[22:25], v3, s[20:21]
	v_readfirstlane_b32 s10, v26
	v_readfirstlane_b32 s11, v27
	s_mov_b32 s3, exec_lo
	s_wait_loadcnt 0x1
	v_and_b32_e32 v28, s10, v28
	v_and_b32_e32 v29, s11, v29
	s_delay_alu instid0(VALU_DEP_1) | instskip(SKIP_1) | instid1(VALU_DEP_1)
	v_mul_u64_e32 v[26:27], 24, v[28:29]
	s_wait_loadcnt 0x0
	v_add_nc_u64_e32 v[26:27], v[22:23], v[26:27]
	s_wait_xcnt 0x0
	s_and_saveexec_b32 s12, s2
	s_cbranch_execz .LBB2_219
; %bb.218:                              ;   in Loop: Header=BB2_162 Depth=1
	v_mov_b32_e32 v2, s3
	global_store_b128 v[26:27], v[2:5], off offset:8
.LBB2_219:                              ;   in Loop: Header=BB2_162 Depth=1
	s_wait_xcnt 0x0
	s_or_b32 exec_lo, exec_lo, s12
	v_cmp_gt_u64_e64 s3, s[6:7], 56
	v_lshlrev_b64_e32 v[28:29], 12, v[28:29]
	v_and_b32_e32 v2, 0xffffff1f, v6
	s_and_b32 s3, s3, exec_lo
	s_delay_alu instid0(VALU_DEP_2) | instskip(SKIP_4) | instid1(VALU_DEP_2)
	v_add_nc_u64_e32 v[24:25], v[24:25], v[28:29]
	s_cselect_b32 s3, 0, 2
	s_lshl_b32 s12, s8, 2
	v_or_b32_e32 v2, s3, v2
	s_add_co_i32 s3, s12, 28
	v_readfirstlane_b32 s12, v24
	s_delay_alu instid0(VALU_DEP_3) | instskip(NEXT) | instid1(VALU_DEP_3)
	v_readfirstlane_b32 s13, v25
	v_and_or_b32 v6, 0x1e0, s3, v2
	s_clause 0x3
	global_store_b128 v38, v[6:9], s[12:13]
	global_store_b128 v38, v[10:13], s[12:13] offset:16
	global_store_b128 v38, v[14:17], s[12:13] offset:32
	;; [unrolled: 1-line block ×3, first 2 shown]
	s_wait_xcnt 0x0
	s_and_saveexec_b32 s3, s2
	s_cbranch_execz .LBB2_227
; %bb.220:                              ;   in Loop: Header=BB2_162 Depth=1
	s_clause 0x1
	global_load_b64 v[14:15], v3, s[20:21] offset:32 scope:SCOPE_SYS
	global_load_b64 v[6:7], v3, s[20:21] offset:40
	s_mov_b32 s12, exec_lo
	v_dual_mov_b32 v12, s10 :: v_dual_mov_b32 v13, s11
	s_wait_loadcnt 0x0
	v_and_b32_e32 v7, s11, v7
	v_and_b32_e32 v6, s10, v6
	s_delay_alu instid0(VALU_DEP_1) | instskip(NEXT) | instid1(VALU_DEP_1)
	v_mul_u64_e32 v[6:7], 24, v[6:7]
	v_add_nc_u64_e32 v[10:11], v[22:23], v[6:7]
	global_store_b64 v[10:11], v[14:15], off
	global_wb scope:SCOPE_SYS
	s_wait_storecnt 0x0
	s_wait_xcnt 0x0
	global_atomic_cmpswap_b64 v[8:9], v3, v[12:15], s[20:21] offset:32 th:TH_ATOMIC_RETURN scope:SCOPE_SYS
	s_wait_loadcnt 0x0
	v_cmpx_ne_u64_e64 v[8:9], v[14:15]
	s_cbranch_execz .LBB2_223
; %bb.221:                              ;   in Loop: Header=BB2_162 Depth=1
	s_mov_b32 s13, 0
.LBB2_222:                              ;   Parent Loop BB2_162 Depth=1
                                        ; =>  This Inner Loop Header: Depth=2
	v_dual_mov_b32 v6, s10 :: v_dual_mov_b32 v7, s11
	s_sleep 1
	global_store_b64 v[10:11], v[8:9], off
	global_wb scope:SCOPE_SYS
	s_wait_storecnt 0x0
	s_wait_xcnt 0x0
	global_atomic_cmpswap_b64 v[6:7], v3, v[6:9], s[20:21] offset:32 th:TH_ATOMIC_RETURN scope:SCOPE_SYS
	s_wait_loadcnt 0x0
	v_cmp_eq_u64_e32 vcc_lo, v[6:7], v[8:9]
	v_mov_b64_e32 v[8:9], v[6:7]
	s_or_b32 s13, vcc_lo, s13
	s_delay_alu instid0(SALU_CYCLE_1)
	s_and_not1_b32 exec_lo, exec_lo, s13
	s_cbranch_execnz .LBB2_222
.LBB2_223:                              ;   in Loop: Header=BB2_162 Depth=1
	s_or_b32 exec_lo, exec_lo, s12
	global_load_b64 v[6:7], v3, s[20:21] offset:16
	s_mov_b32 s13, exec_lo
	s_mov_b32 s12, exec_lo
	v_mbcnt_lo_u32_b32 v2, s13, 0
	s_wait_xcnt 0x0
	s_delay_alu instid0(VALU_DEP_1)
	v_cmpx_eq_u32_e32 0, v2
	s_cbranch_execz .LBB2_225
; %bb.224:                              ;   in Loop: Header=BB2_162 Depth=1
	s_bcnt1_i32_b32 s13, s13
	s_delay_alu instid0(SALU_CYCLE_1)
	v_mov_b32_e32 v2, s13
	global_wb scope:SCOPE_SYS
	s_wait_loadcnt 0x0
	s_wait_storecnt 0x0
	global_atomic_add_u64 v[6:7], v[2:3], off offset:8 scope:SCOPE_SYS
.LBB2_225:                              ;   in Loop: Header=BB2_162 Depth=1
	s_wait_xcnt 0x0
	s_or_b32 exec_lo, exec_lo, s12
	s_wait_loadcnt 0x0
	global_load_b64 v[8:9], v[6:7], off offset:16
	s_wait_loadcnt 0x0
	v_cmp_eq_u64_e32 vcc_lo, 0, v[8:9]
	s_cbranch_vccnz .LBB2_227
; %bb.226:                              ;   in Loop: Header=BB2_162 Depth=1
	global_load_b32 v2, v[6:7], off offset:24
	s_wait_loadcnt 0x0
	v_readfirstlane_b32 s12, v2
	global_wb scope:SCOPE_SYS
	s_wait_storecnt 0x0
	s_wait_xcnt 0x0
	global_store_b64 v[8:9], v[2:3], off scope:SCOPE_SYS
	s_and_b32 m0, s12, 0xffffff
	s_sendmsg sendmsg(MSG_INTERRUPT)
.LBB2_227:                              ;   in Loop: Header=BB2_162 Depth=1
	s_wait_xcnt 0x0
	s_or_b32 exec_lo, exec_lo, s3
	v_mov_b32_e32 v39, v3
	s_delay_alu instid0(VALU_DEP_1)
	v_add_nc_u64_e32 v[6:7], v[24:25], v[38:39]
	s_branch .LBB2_231
.LBB2_228:                              ;   in Loop: Header=BB2_231 Depth=2
	s_wait_xcnt 0x0
	s_or_b32 exec_lo, exec_lo, s3
	s_delay_alu instid0(VALU_DEP_1)
	v_readfirstlane_b32 s3, v2
	s_cmp_eq_u32 s3, 0
	s_cbranch_scc1 .LBB2_230
; %bb.229:                              ;   in Loop: Header=BB2_231 Depth=2
	s_sleep 1
	s_cbranch_execnz .LBB2_231
	s_branch .LBB2_233
.LBB2_230:                              ;   in Loop: Header=BB2_162 Depth=1
	s_branch .LBB2_233
.LBB2_231:                              ;   Parent Loop BB2_162 Depth=1
                                        ; =>  This Inner Loop Header: Depth=2
	v_mov_b32_e32 v2, 1
	s_and_saveexec_b32 s3, s2
	s_cbranch_execz .LBB2_228
; %bb.232:                              ;   in Loop: Header=BB2_231 Depth=2
	global_load_b32 v2, v[26:27], off offset:20 scope:SCOPE_SYS
	s_wait_loadcnt 0x0
	global_inv scope:SCOPE_SYS
	v_and_b32_e32 v2, 1, v2
	s_branch .LBB2_228
.LBB2_233:                              ;   in Loop: Header=BB2_162 Depth=1
	global_load_b128 v[6:9], v[6:7], off
	s_wait_xcnt 0x0
	s_and_saveexec_b32 s12, s2
	s_cbranch_execz .LBB2_161
; %bb.234:                              ;   in Loop: Header=BB2_162 Depth=1
	s_wait_loadcnt 0x0
	s_clause 0x2
	global_load_b64 v[8:9], v3, s[20:21] offset:40
	global_load_b64 v[16:17], v3, s[20:21] offset:24 scope:SCOPE_SYS
	global_load_b64 v[10:11], v3, s[20:21]
	s_wait_loadcnt 0x2
	v_readfirstlane_b32 s14, v8
	v_readfirstlane_b32 s15, v9
	s_add_nc_u64 s[2:3], s[14:15], 1
	s_delay_alu instid0(SALU_CYCLE_1) | instskip(NEXT) | instid1(SALU_CYCLE_1)
	s_add_nc_u64 s[10:11], s[2:3], s[10:11]
	s_cmp_eq_u64 s[10:11], 0
	s_cselect_b32 s3, s3, s11
	s_cselect_b32 s2, s2, s10
	s_delay_alu instid0(SALU_CYCLE_1) | instskip(SKIP_1) | instid1(SALU_CYCLE_1)
	v_dual_mov_b32 v15, s3 :: v_dual_mov_b32 v14, s2
	s_and_b64 s[10:11], s[2:3], s[14:15]
	s_mul_u64 s[10:11], s[10:11], 24
	s_wait_loadcnt 0x0
	v_add_nc_u64_e32 v[12:13], s[10:11], v[10:11]
	global_store_b64 v[12:13], v[16:17], off
	global_wb scope:SCOPE_SYS
	s_wait_storecnt 0x0
	s_wait_xcnt 0x0
	global_atomic_cmpswap_b64 v[10:11], v3, v[14:17], s[20:21] offset:24 th:TH_ATOMIC_RETURN scope:SCOPE_SYS
	s_wait_loadcnt 0x0
	v_cmp_ne_u64_e32 vcc_lo, v[10:11], v[16:17]
	s_and_b32 exec_lo, exec_lo, vcc_lo
	s_cbranch_execz .LBB2_161
; %bb.235:                              ;   in Loop: Header=BB2_162 Depth=1
	s_mov_b32 s10, 0
.LBB2_236:                              ;   Parent Loop BB2_162 Depth=1
                                        ; =>  This Inner Loop Header: Depth=2
	v_dual_mov_b32 v8, s2 :: v_dual_mov_b32 v9, s3
	s_sleep 1
	global_store_b64 v[12:13], v[10:11], off
	global_wb scope:SCOPE_SYS
	s_wait_storecnt 0x0
	s_wait_xcnt 0x0
	global_atomic_cmpswap_b64 v[8:9], v3, v[8:11], s[20:21] offset:24 th:TH_ATOMIC_RETURN scope:SCOPE_SYS
	s_wait_loadcnt 0x0
	v_cmp_eq_u64_e32 vcc_lo, v[8:9], v[10:11]
	v_mov_b64_e32 v[10:11], v[8:9]
	s_or_b32 s10, vcc_lo, s10
	s_delay_alu instid0(SALU_CYCLE_1)
	s_and_not1_b32 exec_lo, exec_lo, s10
	s_cbranch_execnz .LBB2_236
	s_branch .LBB2_161
.LBB2_237:
.LBB2_238:
	s_load_b96 s[16:18], s[0:1], 0x18
	s_mov_b32 s4, 0
	s_wait_kmcnt 0x0
	s_cmp_lt_i32 s17, 0
	s_cbranch_scc0 .LBB2_267
	s_branch .LBB2_428
.LBB2_239:
	s_cbranch_execz .LBB2_238
; %bb.240:
	v_readfirstlane_b32 s2, v46
	s_wait_loadcnt 0x0
	v_mov_b64_e32 v[8:9], 0
	s_delay_alu instid0(VALU_DEP_2)
	v_cmp_eq_u32_e64 s2, s2, v46
	s_and_saveexec_b32 s3, s2
	s_cbranch_execz .LBB2_246
; %bb.241:
	v_mov_b32_e32 v2, 0
	s_mov_b32 s4, exec_lo
	global_load_b64 v[6:7], v2, s[20:21] offset:24 scope:SCOPE_SYS
	s_wait_loadcnt 0x0
	global_inv scope:SCOPE_SYS
	s_clause 0x1
	global_load_b64 v[4:5], v2, s[20:21] offset:40
	global_load_b64 v[8:9], v2, s[20:21]
	s_wait_loadcnt 0x1
	v_and_b32_e32 v4, v4, v6
	v_and_b32_e32 v5, v5, v7
	s_delay_alu instid0(VALU_DEP_1) | instskip(SKIP_1) | instid1(VALU_DEP_1)
	v_mul_u64_e32 v[4:5], 24, v[4:5]
	s_wait_loadcnt 0x0
	v_add_nc_u64_e32 v[4:5], v[8:9], v[4:5]
	global_load_b64 v[4:5], v[4:5], off scope:SCOPE_SYS
	s_wait_xcnt 0x0
	s_wait_loadcnt 0x0
	global_atomic_cmpswap_b64 v[8:9], v2, v[4:7], s[20:21] offset:24 th:TH_ATOMIC_RETURN scope:SCOPE_SYS
	s_wait_loadcnt 0x0
	global_inv scope:SCOPE_SYS
	s_wait_xcnt 0x0
	v_cmpx_ne_u64_e64 v[8:9], v[6:7]
	s_cbranch_execz .LBB2_245
; %bb.242:
	s_mov_b32 s5, 0
.LBB2_243:                              ; =>This Inner Loop Header: Depth=1
	s_sleep 1
	s_clause 0x1
	global_load_b64 v[4:5], v2, s[20:21] offset:40
	global_load_b64 v[10:11], v2, s[20:21]
	v_mov_b64_e32 v[6:7], v[8:9]
	s_wait_loadcnt 0x1
	s_delay_alu instid0(VALU_DEP_1) | instskip(SKIP_1) | instid1(VALU_DEP_1)
	v_and_b32_e32 v3, v4, v6
	s_wait_loadcnt 0x0
	v_mad_nc_u64_u32 v[8:9], v3, 24, v[10:11]
	s_delay_alu instid0(VALU_DEP_3) | instskip(NEXT) | instid1(VALU_DEP_1)
	v_and_b32_e32 v3, v5, v7
	v_mad_u32 v9, v3, 24, v9
	global_load_b64 v[4:5], v[8:9], off scope:SCOPE_SYS
	s_wait_xcnt 0x0
	s_wait_loadcnt 0x0
	global_atomic_cmpswap_b64 v[8:9], v2, v[4:7], s[20:21] offset:24 th:TH_ATOMIC_RETURN scope:SCOPE_SYS
	s_wait_loadcnt 0x0
	global_inv scope:SCOPE_SYS
	v_cmp_eq_u64_e32 vcc_lo, v[8:9], v[6:7]
	s_or_b32 s5, vcc_lo, s5
	s_wait_xcnt 0x0
	s_and_not1_b32 exec_lo, exec_lo, s5
	s_cbranch_execnz .LBB2_243
; %bb.244:
	s_or_b32 exec_lo, exec_lo, s5
.LBB2_245:
	s_delay_alu instid0(SALU_CYCLE_1)
	s_or_b32 exec_lo, exec_lo, s4
.LBB2_246:
	s_delay_alu instid0(SALU_CYCLE_1)
	s_or_b32 exec_lo, exec_lo, s3
	v_readfirstlane_b32 s4, v8
	v_mov_b32_e32 v2, 0
	v_readfirstlane_b32 s5, v9
	s_mov_b32 s3, exec_lo
	s_clause 0x1
	global_load_b64 v[10:11], v2, s[20:21] offset:40
	global_load_b128 v[4:7], v2, s[20:21]
	s_wait_loadcnt 0x1
	v_and_b32_e32 v10, s4, v10
	v_and_b32_e32 v11, s5, v11
	s_delay_alu instid0(VALU_DEP_1) | instskip(SKIP_1) | instid1(VALU_DEP_1)
	v_mul_u64_e32 v[8:9], 24, v[10:11]
	s_wait_loadcnt 0x0
	v_add_nc_u64_e32 v[8:9], v[4:5], v[8:9]
	s_wait_xcnt 0x0
	s_and_saveexec_b32 s6, s2
	s_cbranch_execz .LBB2_248
; %bb.247:
	v_mov_b64_e32 v[14:15], 0x100000002
	v_dual_mov_b32 v12, s3 :: v_dual_mov_b32 v13, v2
	global_store_b128 v[8:9], v[12:15], off offset:8
.LBB2_248:
	s_wait_xcnt 0x0
	s_or_b32 exec_lo, exec_lo, s6
	v_lshlrev_b64_e32 v[10:11], 12, v[10:11]
	s_mov_b32 s8, 0
	v_and_or_b32 v0, 0xffffff1d, v0, 34
	s_mov_b32 s10, s8
	s_mov_b32 s11, s8
	;; [unrolled: 1-line block ×3, first 2 shown]
	v_mov_b32_e32 v3, v2
	v_add_nc_u64_e32 v[6:7], v[6:7], v[10:11]
	v_mov_b64_e32 v[12:13], s[10:11]
	v_mov_b64_e32 v[10:11], s[8:9]
	s_delay_alu instid0(VALU_DEP_3) | instskip(NEXT) | instid1(VALU_DEP_4)
	v_readfirstlane_b32 s6, v6
	v_readfirstlane_b32 s7, v7
	s_clause 0x3
	global_store_b128 v38, v[0:3], s[6:7]
	global_store_b128 v38, v[10:13], s[6:7] offset:16
	global_store_b128 v38, v[10:13], s[6:7] offset:32
	global_store_b128 v38, v[10:13], s[6:7] offset:48
	s_wait_xcnt 0x0
	s_and_saveexec_b32 s3, s2
	s_cbranch_execz .LBB2_256
; %bb.249:
	v_dual_mov_b32 v6, 0 :: v_dual_mov_b32 v11, s5
	s_mov_b32 s6, exec_lo
	s_clause 0x1
	global_load_b64 v[12:13], v6, s[20:21] offset:32 scope:SCOPE_SYS
	global_load_b64 v[0:1], v6, s[20:21] offset:40
	s_wait_loadcnt 0x0
	v_dual_mov_b32 v10, s4 :: v_dual_bitop2_b32 v1, s5, v1 bitop3:0x40
	v_and_b32_e32 v0, s4, v0
	s_delay_alu instid0(VALU_DEP_1) | instskip(NEXT) | instid1(VALU_DEP_1)
	v_mul_u64_e32 v[0:1], 24, v[0:1]
	v_add_nc_u64_e32 v[4:5], v[4:5], v[0:1]
	global_store_b64 v[4:5], v[12:13], off
	global_wb scope:SCOPE_SYS
	s_wait_storecnt 0x0
	s_wait_xcnt 0x0
	global_atomic_cmpswap_b64 v[2:3], v6, v[10:13], s[20:21] offset:32 th:TH_ATOMIC_RETURN scope:SCOPE_SYS
	s_wait_loadcnt 0x0
	v_cmpx_ne_u64_e64 v[2:3], v[12:13]
	s_cbranch_execz .LBB2_252
; %bb.250:
	s_mov_b32 s7, 0
.LBB2_251:                              ; =>This Inner Loop Header: Depth=1
	v_dual_mov_b32 v0, s4 :: v_dual_mov_b32 v1, s5
	s_sleep 1
	global_store_b64 v[4:5], v[2:3], off
	global_wb scope:SCOPE_SYS
	s_wait_storecnt 0x0
	s_wait_xcnt 0x0
	global_atomic_cmpswap_b64 v[0:1], v6, v[0:3], s[20:21] offset:32 th:TH_ATOMIC_RETURN scope:SCOPE_SYS
	s_wait_loadcnt 0x0
	v_cmp_eq_u64_e32 vcc_lo, v[0:1], v[2:3]
	v_mov_b64_e32 v[2:3], v[0:1]
	s_or_b32 s7, vcc_lo, s7
	s_delay_alu instid0(SALU_CYCLE_1)
	s_and_not1_b32 exec_lo, exec_lo, s7
	s_cbranch_execnz .LBB2_251
.LBB2_252:
	s_or_b32 exec_lo, exec_lo, s6
	v_mov_b32_e32 v3, 0
	s_mov_b32 s7, exec_lo
	s_mov_b32 s6, exec_lo
	v_mbcnt_lo_u32_b32 v2, s7, 0
	global_load_b64 v[0:1], v3, s[20:21] offset:16
	s_wait_xcnt 0x0
	v_cmpx_eq_u32_e32 0, v2
	s_cbranch_execz .LBB2_254
; %bb.253:
	s_bcnt1_i32_b32 s7, s7
	s_delay_alu instid0(SALU_CYCLE_1)
	v_mov_b32_e32 v2, s7
	global_wb scope:SCOPE_SYS
	s_wait_loadcnt 0x0
	s_wait_storecnt 0x0
	global_atomic_add_u64 v[0:1], v[2:3], off offset:8 scope:SCOPE_SYS
.LBB2_254:
	s_wait_xcnt 0x0
	s_or_b32 exec_lo, exec_lo, s6
	s_wait_loadcnt 0x0
	global_load_b64 v[2:3], v[0:1], off offset:16
	s_wait_loadcnt 0x0
	v_cmp_eq_u64_e32 vcc_lo, 0, v[2:3]
	s_cbranch_vccnz .LBB2_256
; %bb.255:
	global_load_b32 v0, v[0:1], off offset:24
	s_wait_xcnt 0x0
	v_mov_b32_e32 v1, 0
	s_wait_loadcnt 0x0
	v_readfirstlane_b32 s6, v0
	global_wb scope:SCOPE_SYS
	s_wait_storecnt 0x0
	global_store_b64 v[2:3], v[0:1], off scope:SCOPE_SYS
	s_and_b32 m0, s6, 0xffffff
	s_sendmsg sendmsg(MSG_INTERRUPT)
.LBB2_256:
	s_wait_xcnt 0x0
	s_or_b32 exec_lo, exec_lo, s3
	s_branch .LBB2_260
.LBB2_257:                              ;   in Loop: Header=BB2_260 Depth=1
	s_wait_xcnt 0x0
	s_or_b32 exec_lo, exec_lo, s3
	s_delay_alu instid0(VALU_DEP_1)
	v_readfirstlane_b32 s3, v0
	s_cmp_eq_u32 s3, 0
	s_cbranch_scc1 .LBB2_259
; %bb.258:                              ;   in Loop: Header=BB2_260 Depth=1
	s_sleep 1
	s_cbranch_execnz .LBB2_260
	s_branch .LBB2_262
.LBB2_259:
	s_branch .LBB2_262
.LBB2_260:                              ; =>This Inner Loop Header: Depth=1
	v_mov_b32_e32 v0, 1
	s_and_saveexec_b32 s3, s2
	s_cbranch_execz .LBB2_257
; %bb.261:                              ;   in Loop: Header=BB2_260 Depth=1
	global_load_b32 v0, v[8:9], off offset:20 scope:SCOPE_SYS
	s_wait_loadcnt 0x0
	global_inv scope:SCOPE_SYS
	v_and_b32_e32 v0, 1, v0
	s_branch .LBB2_257
.LBB2_262:
	s_and_saveexec_b32 s6, s2
	s_cbranch_execz .LBB2_266
; %bb.263:
	v_mov_b32_e32 v6, 0
	s_clause 0x2
	global_load_b64 v[0:1], v6, s[20:21] offset:40
	global_load_b64 v[10:11], v6, s[20:21] offset:24 scope:SCOPE_SYS
	global_load_b64 v[2:3], v6, s[20:21]
	s_wait_loadcnt 0x2
	v_readfirstlane_b32 s8, v0
	v_readfirstlane_b32 s9, v1
	s_add_nc_u64 s[2:3], s[8:9], 1
	s_delay_alu instid0(SALU_CYCLE_1) | instskip(NEXT) | instid1(SALU_CYCLE_1)
	s_add_nc_u64 s[4:5], s[2:3], s[4:5]
	s_cmp_eq_u64 s[4:5], 0
	s_cselect_b32 s3, s3, s5
	s_cselect_b32 s2, s2, s4
	v_mov_b32_e32 v9, s3
	s_and_b64 s[4:5], s[2:3], s[8:9]
	v_mov_b32_e32 v8, s2
	s_mul_u64 s[4:5], s[4:5], 24
	s_wait_loadcnt 0x0
	v_add_nc_u64_e32 v[4:5], s[4:5], v[2:3]
	global_store_b64 v[4:5], v[10:11], off
	global_wb scope:SCOPE_SYS
	s_wait_storecnt 0x0
	s_wait_xcnt 0x0
	global_atomic_cmpswap_b64 v[2:3], v6, v[8:11], s[20:21] offset:24 th:TH_ATOMIC_RETURN scope:SCOPE_SYS
	s_wait_loadcnt 0x0
	v_cmp_ne_u64_e32 vcc_lo, v[2:3], v[10:11]
	s_and_b32 exec_lo, exec_lo, vcc_lo
	s_cbranch_execz .LBB2_266
; %bb.264:
	s_mov_b32 s4, 0
.LBB2_265:                              ; =>This Inner Loop Header: Depth=1
	v_dual_mov_b32 v0, s2 :: v_dual_mov_b32 v1, s3
	s_sleep 1
	global_store_b64 v[4:5], v[2:3], off
	global_wb scope:SCOPE_SYS
	s_wait_storecnt 0x0
	s_wait_xcnt 0x0
	global_atomic_cmpswap_b64 v[0:1], v6, v[0:3], s[20:21] offset:24 th:TH_ATOMIC_RETURN scope:SCOPE_SYS
	s_wait_loadcnt 0x0
	v_cmp_eq_u64_e32 vcc_lo, v[0:1], v[2:3]
	v_mov_b64_e32 v[2:3], v[0:1]
	s_or_b32 s4, vcc_lo, s4
	s_delay_alu instid0(SALU_CYCLE_1)
	s_and_not1_b32 exec_lo, exec_lo, s4
	s_cbranch_execnz .LBB2_265
.LBB2_266:
	s_or_b32 exec_lo, exec_lo, s6
	s_load_b96 s[16:18], s[0:1], 0x18
	s_mov_b32 s4, 0
	s_wait_kmcnt 0x0
	s_cmp_lt_i32 s17, 0
	s_cbranch_scc1 .LBB2_428
.LBB2_267:
	s_wait_loadcnt 0x0
	v_dual_mov_b32 v1, 0 :: v_dual_mov_b32 v34, v38
	s_mov_b32 s6, s4
	s_mov_b32 s7, s4
	s_mov_b32 s5, s4
	v_mov_b64_e32 v[10:11], s[6:7]
	v_mov_b64_e32 v[2:3], 0x100000002
	;; [unrolled: 1-line block ×3, first 2 shown]
	s_get_pc_i64 s[8:9]
	s_add_nc_u64 s[8:9], s[8:9], .str.7@rel64+4
	v_dual_mov_b32 v4, 33 :: v_dual_mov_b32 v35, v1
	v_dual_mov_b32 v5, v1 :: v_dual_mov_b32 v6, v1
	v_mov_b32_e32 v7, v1
	s_cmp_lg_u64 s[8:9], 0
	s_mov_b32 s26, s4
	s_cselect_b32 s19, -1, 0
	s_branch .LBB2_269
.LBB2_268:                              ;   in Loop: Header=BB2_269 Depth=1
	s_or_b32 exec_lo, exec_lo, s12
	s_add_co_i32 s2, s26, 1
	s_cmp_eq_u32 s26, s17
	s_mov_b32 s26, s2
	s_cbranch_scc1 .LBB2_428
.LBB2_269:                              ; =>This Loop Header: Depth=1
                                        ;     Child Loop BB2_272 Depth 2
                                        ;     Child Loop BB2_280 Depth 2
	;; [unrolled: 1-line block ×9, first 2 shown]
                                        ;       Child Loop BB2_301 Depth 3
                                        ;       Child Loop BB2_308 Depth 3
	;; [unrolled: 1-line block ×11, first 2 shown]
                                        ;     Child Loop BB2_405 Depth 2
                                        ;     Child Loop BB2_413 Depth 2
	;; [unrolled: 1-line block ×4, first 2 shown]
	v_readfirstlane_b32 s2, v46
	v_mov_b64_e32 v[16:17], 0
	s_delay_alu instid0(VALU_DEP_2)
	v_cmp_eq_u32_e64 s2, s2, v46
	s_and_saveexec_b32 s3, s2
	s_cbranch_execz .LBB2_275
; %bb.270:                              ;   in Loop: Header=BB2_269 Depth=1
	global_load_b64 v[14:15], v1, s[20:21] offset:24 scope:SCOPE_SYS
	s_wait_loadcnt 0x0
	global_inv scope:SCOPE_SYS
	s_clause 0x1
	global_load_b64 v[12:13], v1, s[20:21] offset:40
	global_load_b64 v[16:17], v1, s[20:21]
	s_mov_b32 s10, exec_lo
	s_wait_loadcnt 0x1
	v_and_b32_e32 v12, v12, v14
	v_and_b32_e32 v13, v13, v15
	s_delay_alu instid0(VALU_DEP_1) | instskip(SKIP_1) | instid1(VALU_DEP_1)
	v_mul_u64_e32 v[12:13], 24, v[12:13]
	s_wait_loadcnt 0x0
	v_add_nc_u64_e32 v[12:13], v[16:17], v[12:13]
	global_load_b64 v[12:13], v[12:13], off scope:SCOPE_SYS
	s_wait_xcnt 0x0
	s_wait_loadcnt 0x0
	global_atomic_cmpswap_b64 v[16:17], v1, v[12:15], s[20:21] offset:24 th:TH_ATOMIC_RETURN scope:SCOPE_SYS
	s_wait_loadcnt 0x0
	global_inv scope:SCOPE_SYS
	s_wait_xcnt 0x0
	v_cmpx_ne_u64_e64 v[16:17], v[14:15]
	s_cbranch_execz .LBB2_274
; %bb.271:                              ;   in Loop: Header=BB2_269 Depth=1
	s_mov_b32 s11, 0
.LBB2_272:                              ;   Parent Loop BB2_269 Depth=1
                                        ; =>  This Inner Loop Header: Depth=2
	s_sleep 1
	s_clause 0x1
	global_load_b64 v[12:13], v1, s[20:21] offset:40
	global_load_b64 v[18:19], v1, s[20:21]
	v_mov_b64_e32 v[14:15], v[16:17]
	s_wait_loadcnt 0x1
	s_delay_alu instid0(VALU_DEP_1) | instskip(SKIP_1) | instid1(VALU_DEP_1)
	v_and_b32_e32 v0, v12, v14
	s_wait_loadcnt 0x0
	v_mad_nc_u64_u32 v[16:17], v0, 24, v[18:19]
	s_delay_alu instid0(VALU_DEP_3) | instskip(NEXT) | instid1(VALU_DEP_1)
	v_and_b32_e32 v0, v13, v15
	v_mad_u32 v17, v0, 24, v17
	global_load_b64 v[12:13], v[16:17], off scope:SCOPE_SYS
	s_wait_xcnt 0x0
	s_wait_loadcnt 0x0
	global_atomic_cmpswap_b64 v[16:17], v1, v[12:15], s[20:21] offset:24 th:TH_ATOMIC_RETURN scope:SCOPE_SYS
	s_wait_loadcnt 0x0
	global_inv scope:SCOPE_SYS
	v_cmp_eq_u64_e32 vcc_lo, v[16:17], v[14:15]
	s_or_b32 s11, vcc_lo, s11
	s_wait_xcnt 0x0
	s_and_not1_b32 exec_lo, exec_lo, s11
	s_cbranch_execnz .LBB2_272
; %bb.273:                              ;   in Loop: Header=BB2_269 Depth=1
	s_or_b32 exec_lo, exec_lo, s11
.LBB2_274:                              ;   in Loop: Header=BB2_269 Depth=1
	s_delay_alu instid0(SALU_CYCLE_1)
	s_or_b32 exec_lo, exec_lo, s10
.LBB2_275:                              ;   in Loop: Header=BB2_269 Depth=1
	s_delay_alu instid0(SALU_CYCLE_1)
	s_or_b32 exec_lo, exec_lo, s3
	s_clause 0x1
	global_load_b64 v[18:19], v1, s[20:21] offset:40
	global_load_b128 v[12:15], v1, s[20:21]
	v_readfirstlane_b32 s10, v16
	v_readfirstlane_b32 s11, v17
	s_mov_b32 s3, exec_lo
	s_wait_loadcnt 0x1
	v_and_b32_e32 v18, s10, v18
	v_and_b32_e32 v19, s11, v19
	s_delay_alu instid0(VALU_DEP_1) | instskip(SKIP_1) | instid1(VALU_DEP_1)
	v_mul_u64_e32 v[16:17], 24, v[18:19]
	s_wait_loadcnt 0x0
	v_add_nc_u64_e32 v[16:17], v[12:13], v[16:17]
	s_wait_xcnt 0x0
	s_and_saveexec_b32 s12, s2
	s_cbranch_execz .LBB2_277
; %bb.276:                              ;   in Loop: Header=BB2_269 Depth=1
	v_mov_b32_e32 v0, s3
	global_store_b128 v[16:17], v[0:3], off offset:8
.LBB2_277:                              ;   in Loop: Header=BB2_269 Depth=1
	s_wait_xcnt 0x0
	s_or_b32 exec_lo, exec_lo, s12
	v_lshlrev_b64_e32 v[18:19], 12, v[18:19]
	s_delay_alu instid0(VALU_DEP_1) | instskip(NEXT) | instid1(VALU_DEP_1)
	v_add_nc_u64_e32 v[18:19], v[14:15], v[18:19]
	v_readfirstlane_b32 s12, v18
	s_delay_alu instid0(VALU_DEP_2)
	v_readfirstlane_b32 s13, v19
	s_clause 0x3
	global_store_b128 v38, v[4:7], s[12:13]
	global_store_b128 v38, v[8:11], s[12:13] offset:16
	global_store_b128 v38, v[8:11], s[12:13] offset:32
	global_store_b128 v38, v[8:11], s[12:13] offset:48
	s_wait_xcnt 0x0
	s_and_saveexec_b32 s3, s2
	s_cbranch_execz .LBB2_285
; %bb.278:                              ;   in Loop: Header=BB2_269 Depth=1
	s_clause 0x1
	global_load_b64 v[24:25], v1, s[20:21] offset:32 scope:SCOPE_SYS
	global_load_b64 v[14:15], v1, s[20:21] offset:40
	s_mov_b32 s12, exec_lo
	v_dual_mov_b32 v22, s10 :: v_dual_mov_b32 v23, s11
	s_wait_loadcnt 0x0
	v_and_b32_e32 v15, s11, v15
	v_and_b32_e32 v14, s10, v14
	s_delay_alu instid0(VALU_DEP_1) | instskip(NEXT) | instid1(VALU_DEP_1)
	v_mul_u64_e32 v[14:15], 24, v[14:15]
	v_add_nc_u64_e32 v[20:21], v[12:13], v[14:15]
	global_store_b64 v[20:21], v[24:25], off
	global_wb scope:SCOPE_SYS
	s_wait_storecnt 0x0
	s_wait_xcnt 0x0
	global_atomic_cmpswap_b64 v[14:15], v1, v[22:25], s[20:21] offset:32 th:TH_ATOMIC_RETURN scope:SCOPE_SYS
	s_wait_loadcnt 0x0
	s_wait_xcnt 0x0
	v_cmpx_ne_u64_e64 v[14:15], v[24:25]
	s_cbranch_execz .LBB2_281
; %bb.279:                              ;   in Loop: Header=BB2_269 Depth=1
	s_mov_b32 s13, 0
.LBB2_280:                              ;   Parent Loop BB2_269 Depth=1
                                        ; =>  This Inner Loop Header: Depth=2
	v_dual_mov_b32 v12, s10 :: v_dual_mov_b32 v13, s11
	s_sleep 1
	global_store_b64 v[20:21], v[14:15], off
	global_wb scope:SCOPE_SYS
	s_wait_storecnt 0x0
	s_wait_xcnt 0x0
	global_atomic_cmpswap_b64 v[12:13], v1, v[12:15], s[20:21] offset:32 th:TH_ATOMIC_RETURN scope:SCOPE_SYS
	s_wait_loadcnt 0x0
	v_cmp_eq_u64_e32 vcc_lo, v[12:13], v[14:15]
	s_wait_xcnt 0x0
	v_mov_b64_e32 v[14:15], v[12:13]
	s_or_b32 s13, vcc_lo, s13
	s_delay_alu instid0(SALU_CYCLE_1)
	s_and_not1_b32 exec_lo, exec_lo, s13
	s_cbranch_execnz .LBB2_280
.LBB2_281:                              ;   in Loop: Header=BB2_269 Depth=1
	s_or_b32 exec_lo, exec_lo, s12
	global_load_b64 v[12:13], v1, s[20:21] offset:16
	s_mov_b32 s13, exec_lo
	s_mov_b32 s12, exec_lo
	v_mbcnt_lo_u32_b32 v0, s13, 0
	s_wait_xcnt 0x0
	s_delay_alu instid0(VALU_DEP_1)
	v_cmpx_eq_u32_e32 0, v0
	s_cbranch_execz .LBB2_283
; %bb.282:                              ;   in Loop: Header=BB2_269 Depth=1
	s_bcnt1_i32_b32 s13, s13
	s_delay_alu instid0(SALU_CYCLE_1)
	v_mov_b32_e32 v0, s13
	global_wb scope:SCOPE_SYS
	s_wait_loadcnt 0x0
	s_wait_storecnt 0x0
	global_atomic_add_u64 v[12:13], v[0:1], off offset:8 scope:SCOPE_SYS
.LBB2_283:                              ;   in Loop: Header=BB2_269 Depth=1
	s_wait_xcnt 0x0
	s_or_b32 exec_lo, exec_lo, s12
	s_wait_loadcnt 0x0
	global_load_b64 v[14:15], v[12:13], off offset:16
	s_wait_loadcnt 0x0
	v_cmp_eq_u64_e32 vcc_lo, 0, v[14:15]
	s_cbranch_vccnz .LBB2_285
; %bb.284:                              ;   in Loop: Header=BB2_269 Depth=1
	global_load_b32 v0, v[12:13], off offset:24
	s_wait_loadcnt 0x0
	v_readfirstlane_b32 s12, v0
	global_wb scope:SCOPE_SYS
	s_wait_storecnt 0x0
	s_wait_xcnt 0x0
	global_store_b64 v[14:15], v[0:1], off scope:SCOPE_SYS
	s_and_b32 m0, s12, 0xffffff
	s_sendmsg sendmsg(MSG_INTERRUPT)
.LBB2_285:                              ;   in Loop: Header=BB2_269 Depth=1
	s_wait_xcnt 0x0
	s_or_b32 exec_lo, exec_lo, s3
	v_add_nc_u64_e32 v[12:13], v[18:19], v[34:35]
	s_branch .LBB2_289
.LBB2_286:                              ;   in Loop: Header=BB2_289 Depth=2
	s_wait_xcnt 0x0
	s_or_b32 exec_lo, exec_lo, s3
	s_delay_alu instid0(VALU_DEP_1)
	v_readfirstlane_b32 s3, v0
	s_cmp_eq_u32 s3, 0
	s_cbranch_scc1 .LBB2_288
; %bb.287:                              ;   in Loop: Header=BB2_289 Depth=2
	s_sleep 1
	s_cbranch_execnz .LBB2_289
	s_branch .LBB2_291
.LBB2_288:                              ;   in Loop: Header=BB2_269 Depth=1
	s_branch .LBB2_291
.LBB2_289:                              ;   Parent Loop BB2_269 Depth=1
                                        ; =>  This Inner Loop Header: Depth=2
	v_mov_b32_e32 v0, 1
	s_and_saveexec_b32 s3, s2
	s_cbranch_execz .LBB2_286
; %bb.290:                              ;   in Loop: Header=BB2_289 Depth=2
	global_load_b32 v0, v[16:17], off offset:20 scope:SCOPE_SYS
	s_wait_loadcnt 0x0
	global_inv scope:SCOPE_SYS
	v_and_b32_e32 v0, 1, v0
	s_branch .LBB2_286
.LBB2_291:                              ;   in Loop: Header=BB2_269 Depth=1
	global_load_b64 v[12:13], v[12:13], off
	s_wait_xcnt 0x0
	s_and_saveexec_b32 s12, s2
	s_cbranch_execz .LBB2_295
; %bb.292:                              ;   in Loop: Header=BB2_269 Depth=1
	s_clause 0x2
	global_load_b64 v[14:15], v1, s[20:21] offset:40
	global_load_b64 v[22:23], v1, s[20:21] offset:24 scope:SCOPE_SYS
	global_load_b64 v[16:17], v1, s[20:21]
	s_wait_loadcnt 0x2
	v_readfirstlane_b32 s14, v14
	v_readfirstlane_b32 s15, v15
	s_add_nc_u64 s[2:3], s[14:15], 1
	s_delay_alu instid0(SALU_CYCLE_1) | instskip(NEXT) | instid1(SALU_CYCLE_1)
	s_add_nc_u64 s[10:11], s[2:3], s[10:11]
	s_cmp_eq_u64 s[10:11], 0
	s_cselect_b32 s3, s3, s11
	s_cselect_b32 s2, s2, s10
	s_delay_alu instid0(SALU_CYCLE_1) | instskip(SKIP_1) | instid1(SALU_CYCLE_1)
	v_dual_mov_b32 v21, s3 :: v_dual_mov_b32 v20, s2
	s_and_b64 s[10:11], s[2:3], s[14:15]
	s_mul_u64 s[10:11], s[10:11], 24
	s_wait_loadcnt 0x0
	v_add_nc_u64_e32 v[18:19], s[10:11], v[16:17]
	global_store_b64 v[18:19], v[22:23], off
	global_wb scope:SCOPE_SYS
	s_wait_storecnt 0x0
	s_wait_xcnt 0x0
	global_atomic_cmpswap_b64 v[16:17], v1, v[20:23], s[20:21] offset:24 th:TH_ATOMIC_RETURN scope:SCOPE_SYS
	s_wait_loadcnt 0x0
	v_cmp_ne_u64_e32 vcc_lo, v[16:17], v[22:23]
	s_and_b32 exec_lo, exec_lo, vcc_lo
	s_cbranch_execz .LBB2_295
; %bb.293:                              ;   in Loop: Header=BB2_269 Depth=1
	s_mov_b32 s10, 0
.LBB2_294:                              ;   Parent Loop BB2_269 Depth=1
                                        ; =>  This Inner Loop Header: Depth=2
	v_dual_mov_b32 v14, s2 :: v_dual_mov_b32 v15, s3
	s_sleep 1
	global_store_b64 v[18:19], v[16:17], off
	global_wb scope:SCOPE_SYS
	s_wait_storecnt 0x0
	s_wait_xcnt 0x0
	global_atomic_cmpswap_b64 v[14:15], v1, v[14:17], s[20:21] offset:24 th:TH_ATOMIC_RETURN scope:SCOPE_SYS
	s_wait_loadcnt 0x0
	v_cmp_eq_u64_e32 vcc_lo, v[14:15], v[16:17]
	v_mov_b64_e32 v[16:17], v[14:15]
	s_or_b32 s10, vcc_lo, s10
	s_delay_alu instid0(SALU_CYCLE_1)
	s_and_not1_b32 exec_lo, exec_lo, s10
	s_cbranch_execnz .LBB2_294
.LBB2_295:                              ;   in Loop: Header=BB2_269 Depth=1
	s_or_b32 exec_lo, exec_lo, s12
	s_delay_alu instid0(SALU_CYCLE_1)
	s_and_b32 vcc_lo, exec_lo, s19
	s_cbranch_vccz .LBB2_374
; %bb.296:                              ;   in Loop: Header=BB2_269 Depth=1
	s_wait_loadcnt 0x0
	v_dual_mov_b32 v15, v13 :: v_dual_bitop2_b32 v36, 2, v12 bitop3:0x40
	v_and_b32_e32 v14, -3, v12
	s_mov_b64 s[10:11], 4
	s_mov_b64 s[12:13], s[8:9]
	s_branch .LBB2_298
.LBB2_297:                              ;   in Loop: Header=BB2_298 Depth=2
	s_or_b32 exec_lo, exec_lo, s24
	s_sub_nc_u64 s[10:11], s[10:11], s[14:15]
	s_add_nc_u64 s[12:13], s[12:13], s[14:15]
	s_cmp_lg_u64 s[10:11], 0
	s_cbranch_scc0 .LBB2_373
.LBB2_298:                              ;   Parent Loop BB2_269 Depth=1
                                        ; =>  This Loop Header: Depth=2
                                        ;       Child Loop BB2_301 Depth 3
                                        ;       Child Loop BB2_308 Depth 3
	;; [unrolled: 1-line block ×11, first 2 shown]
	v_min_u64 v[16:17], s[10:11], 56
	v_cmp_gt_u64_e64 s2, s[10:11], 7
	s_and_b32 vcc_lo, exec_lo, s2
	v_readfirstlane_b32 s14, v16
	v_readfirstlane_b32 s15, v17
	s_cbranch_vccnz .LBB2_303
; %bb.299:                              ;   in Loop: Header=BB2_298 Depth=2
	v_mov_b64_e32 v[16:17], 0
	s_cmp_eq_u64 s[10:11], 0
	s_cbranch_scc1 .LBB2_302
; %bb.300:                              ;   in Loop: Header=BB2_298 Depth=2
	s_mov_b64 s[2:3], 0
	s_mov_b64 s[22:23], 0
.LBB2_301:                              ;   Parent Loop BB2_269 Depth=1
                                        ;     Parent Loop BB2_298 Depth=2
                                        ; =>    This Inner Loop Header: Depth=3
	s_wait_xcnt 0x0
	s_add_nc_u64 s[24:25], s[12:13], s[22:23]
	s_add_nc_u64 s[22:23], s[22:23], 1
	global_load_u8 v0, v1, s[24:25]
	s_cmp_lg_u32 s14, s22
	s_wait_loadcnt 0x0
	v_and_b32_e32 v0, 0xffff, v0
	s_delay_alu instid0(VALU_DEP_1) | instskip(SKIP_1) | instid1(VALU_DEP_1)
	v_lshlrev_b64_e32 v[18:19], s2, v[0:1]
	s_add_nc_u64 s[2:3], s[2:3], 8
	v_or_b32_e32 v16, v18, v16
	s_delay_alu instid0(VALU_DEP_2)
	v_or_b32_e32 v17, v19, v17
	s_cbranch_scc1 .LBB2_301
.LBB2_302:                              ;   in Loop: Header=BB2_298 Depth=2
	s_mov_b64 s[2:3], s[12:13]
	s_mov_b32 s27, 0
	s_cbranch_execz .LBB2_304
	s_branch .LBB2_305
.LBB2_303:                              ;   in Loop: Header=BB2_298 Depth=2
	s_add_nc_u64 s[2:3], s[12:13], 8
	s_mov_b32 s27, 0
.LBB2_304:                              ;   in Loop: Header=BB2_298 Depth=2
	global_load_b64 v[16:17], v1, s[12:13]
	s_add_co_i32 s27, s14, -8
.LBB2_305:                              ;   in Loop: Header=BB2_298 Depth=2
	s_delay_alu instid0(SALU_CYCLE_1)
	s_cmp_gt_u32 s27, 7
	s_cbranch_scc1 .LBB2_310
; %bb.306:                              ;   in Loop: Header=BB2_298 Depth=2
	v_mov_b64_e32 v[18:19], 0
	s_cmp_eq_u32 s27, 0
	s_cbranch_scc1 .LBB2_309
; %bb.307:                              ;   in Loop: Header=BB2_298 Depth=2
	s_mov_b64 s[22:23], 0
	s_wait_xcnt 0x0
	s_mov_b64 s[24:25], 0
.LBB2_308:                              ;   Parent Loop BB2_269 Depth=1
                                        ;     Parent Loop BB2_298 Depth=2
                                        ; =>    This Inner Loop Header: Depth=3
	s_wait_xcnt 0x0
	s_add_nc_u64 s[28:29], s[2:3], s[24:25]
	s_add_nc_u64 s[24:25], s[24:25], 1
	global_load_u8 v0, v1, s[28:29]
	s_cmp_lg_u32 s27, s24
	s_wait_loadcnt 0x0
	v_and_b32_e32 v0, 0xffff, v0
	s_delay_alu instid0(VALU_DEP_1) | instskip(SKIP_1) | instid1(VALU_DEP_1)
	v_lshlrev_b64_e32 v[20:21], s22, v[0:1]
	s_add_nc_u64 s[22:23], s[22:23], 8
	v_or_b32_e32 v18, v20, v18
	s_delay_alu instid0(VALU_DEP_2)
	v_or_b32_e32 v19, v21, v19
	s_cbranch_scc1 .LBB2_308
.LBB2_309:                              ;   in Loop: Header=BB2_298 Depth=2
	s_wait_xcnt 0x0
	s_mov_b64 s[22:23], s[2:3]
	s_mov_b32 s28, 0
	s_cbranch_execz .LBB2_311
	s_branch .LBB2_312
.LBB2_310:                              ;   in Loop: Header=BB2_298 Depth=2
	s_add_nc_u64 s[22:23], s[2:3], 8
	s_wait_xcnt 0x0
                                        ; implicit-def: $vgpr18_vgpr19
	s_mov_b32 s28, 0
.LBB2_311:                              ;   in Loop: Header=BB2_298 Depth=2
	global_load_b64 v[18:19], v1, s[2:3]
	s_add_co_i32 s28, s27, -8
.LBB2_312:                              ;   in Loop: Header=BB2_298 Depth=2
	s_delay_alu instid0(SALU_CYCLE_1)
	s_cmp_gt_u32 s28, 7
	s_cbranch_scc1 .LBB2_317
; %bb.313:                              ;   in Loop: Header=BB2_298 Depth=2
	v_mov_b64_e32 v[20:21], 0
	s_cmp_eq_u32 s28, 0
	s_cbranch_scc1 .LBB2_316
; %bb.314:                              ;   in Loop: Header=BB2_298 Depth=2
	s_wait_xcnt 0x0
	s_mov_b64 s[2:3], 0
	s_mov_b64 s[24:25], 0
.LBB2_315:                              ;   Parent Loop BB2_269 Depth=1
                                        ;     Parent Loop BB2_298 Depth=2
                                        ; =>    This Inner Loop Header: Depth=3
	s_wait_xcnt 0x0
	s_add_nc_u64 s[30:31], s[22:23], s[24:25]
	s_add_nc_u64 s[24:25], s[24:25], 1
	global_load_u8 v0, v1, s[30:31]
	s_cmp_lg_u32 s28, s24
	s_wait_loadcnt 0x0
	v_and_b32_e32 v0, 0xffff, v0
	s_delay_alu instid0(VALU_DEP_1) | instskip(SKIP_1) | instid1(VALU_DEP_1)
	v_lshlrev_b64_e32 v[22:23], s2, v[0:1]
	s_add_nc_u64 s[2:3], s[2:3], 8
	v_or_b32_e32 v20, v22, v20
	s_delay_alu instid0(VALU_DEP_2)
	v_or_b32_e32 v21, v23, v21
	s_cbranch_scc1 .LBB2_315
.LBB2_316:                              ;   in Loop: Header=BB2_298 Depth=2
	s_wait_xcnt 0x0
	s_mov_b64 s[2:3], s[22:23]
	s_mov_b32 s27, 0
	s_cbranch_execz .LBB2_318
	s_branch .LBB2_319
.LBB2_317:                              ;   in Loop: Header=BB2_298 Depth=2
	s_wait_xcnt 0x0
	s_add_nc_u64 s[2:3], s[22:23], 8
	s_mov_b32 s27, 0
.LBB2_318:                              ;   in Loop: Header=BB2_298 Depth=2
	global_load_b64 v[20:21], v1, s[22:23]
	s_add_co_i32 s27, s28, -8
.LBB2_319:                              ;   in Loop: Header=BB2_298 Depth=2
	s_delay_alu instid0(SALU_CYCLE_1)
	s_cmp_gt_u32 s27, 7
	s_cbranch_scc1 .LBB2_324
; %bb.320:                              ;   in Loop: Header=BB2_298 Depth=2
	v_mov_b64_e32 v[22:23], 0
	s_cmp_eq_u32 s27, 0
	s_cbranch_scc1 .LBB2_323
; %bb.321:                              ;   in Loop: Header=BB2_298 Depth=2
	s_wait_xcnt 0x0
	s_mov_b64 s[22:23], 0
	s_mov_b64 s[24:25], 0
.LBB2_322:                              ;   Parent Loop BB2_269 Depth=1
                                        ;     Parent Loop BB2_298 Depth=2
                                        ; =>    This Inner Loop Header: Depth=3
	s_wait_xcnt 0x0
	s_add_nc_u64 s[28:29], s[2:3], s[24:25]
	s_add_nc_u64 s[24:25], s[24:25], 1
	global_load_u8 v0, v1, s[28:29]
	s_cmp_lg_u32 s27, s24
	s_wait_loadcnt 0x0
	v_and_b32_e32 v0, 0xffff, v0
	s_delay_alu instid0(VALU_DEP_1) | instskip(SKIP_1) | instid1(VALU_DEP_1)
	v_lshlrev_b64_e32 v[24:25], s22, v[0:1]
	s_add_nc_u64 s[22:23], s[22:23], 8
	v_or_b32_e32 v22, v24, v22
	s_delay_alu instid0(VALU_DEP_2)
	v_or_b32_e32 v23, v25, v23
	s_cbranch_scc1 .LBB2_322
.LBB2_323:                              ;   in Loop: Header=BB2_298 Depth=2
	s_wait_xcnt 0x0
	s_mov_b64 s[22:23], s[2:3]
	s_mov_b32 s28, 0
	s_cbranch_execz .LBB2_325
	s_branch .LBB2_326
.LBB2_324:                              ;   in Loop: Header=BB2_298 Depth=2
	s_wait_xcnt 0x0
	s_add_nc_u64 s[22:23], s[2:3], 8
                                        ; implicit-def: $vgpr22_vgpr23
	s_mov_b32 s28, 0
.LBB2_325:                              ;   in Loop: Header=BB2_298 Depth=2
	global_load_b64 v[22:23], v1, s[2:3]
	s_add_co_i32 s28, s27, -8
.LBB2_326:                              ;   in Loop: Header=BB2_298 Depth=2
	s_delay_alu instid0(SALU_CYCLE_1)
	s_cmp_gt_u32 s28, 7
	s_cbranch_scc1 .LBB2_331
; %bb.327:                              ;   in Loop: Header=BB2_298 Depth=2
	v_mov_b64_e32 v[24:25], 0
	s_cmp_eq_u32 s28, 0
	s_cbranch_scc1 .LBB2_330
; %bb.328:                              ;   in Loop: Header=BB2_298 Depth=2
	s_wait_xcnt 0x0
	s_mov_b64 s[2:3], 0
	s_mov_b64 s[24:25], 0
.LBB2_329:                              ;   Parent Loop BB2_269 Depth=1
                                        ;     Parent Loop BB2_298 Depth=2
                                        ; =>    This Inner Loop Header: Depth=3
	s_wait_xcnt 0x0
	s_add_nc_u64 s[30:31], s[22:23], s[24:25]
	s_add_nc_u64 s[24:25], s[24:25], 1
	global_load_u8 v0, v1, s[30:31]
	s_cmp_lg_u32 s28, s24
	s_wait_loadcnt 0x0
	v_and_b32_e32 v0, 0xffff, v0
	s_delay_alu instid0(VALU_DEP_1) | instskip(SKIP_1) | instid1(VALU_DEP_1)
	v_lshlrev_b64_e32 v[26:27], s2, v[0:1]
	s_add_nc_u64 s[2:3], s[2:3], 8
	v_or_b32_e32 v24, v26, v24
	s_delay_alu instid0(VALU_DEP_2)
	v_or_b32_e32 v25, v27, v25
	s_cbranch_scc1 .LBB2_329
.LBB2_330:                              ;   in Loop: Header=BB2_298 Depth=2
	s_wait_xcnt 0x0
	s_mov_b64 s[2:3], s[22:23]
	s_mov_b32 s27, 0
	s_cbranch_execz .LBB2_332
	s_branch .LBB2_333
.LBB2_331:                              ;   in Loop: Header=BB2_298 Depth=2
	s_wait_xcnt 0x0
	s_add_nc_u64 s[2:3], s[22:23], 8
	s_mov_b32 s27, 0
.LBB2_332:                              ;   in Loop: Header=BB2_298 Depth=2
	global_load_b64 v[24:25], v1, s[22:23]
	s_add_co_i32 s27, s28, -8
.LBB2_333:                              ;   in Loop: Header=BB2_298 Depth=2
	s_delay_alu instid0(SALU_CYCLE_1)
	s_cmp_gt_u32 s27, 7
	s_cbranch_scc1 .LBB2_338
; %bb.334:                              ;   in Loop: Header=BB2_298 Depth=2
	v_mov_b64_e32 v[26:27], 0
	s_cmp_eq_u32 s27, 0
	s_cbranch_scc1 .LBB2_337
; %bb.335:                              ;   in Loop: Header=BB2_298 Depth=2
	s_wait_xcnt 0x0
	s_mov_b64 s[22:23], 0
	s_mov_b64 s[24:25], 0
.LBB2_336:                              ;   Parent Loop BB2_269 Depth=1
                                        ;     Parent Loop BB2_298 Depth=2
                                        ; =>    This Inner Loop Header: Depth=3
	s_wait_xcnt 0x0
	s_add_nc_u64 s[28:29], s[2:3], s[24:25]
	s_add_nc_u64 s[24:25], s[24:25], 1
	global_load_u8 v0, v1, s[28:29]
	s_cmp_lg_u32 s27, s24
	s_wait_loadcnt 0x0
	v_and_b32_e32 v0, 0xffff, v0
	s_delay_alu instid0(VALU_DEP_1) | instskip(SKIP_1) | instid1(VALU_DEP_1)
	v_lshlrev_b64_e32 v[28:29], s22, v[0:1]
	s_add_nc_u64 s[22:23], s[22:23], 8
	v_or_b32_e32 v26, v28, v26
	s_delay_alu instid0(VALU_DEP_2)
	v_or_b32_e32 v27, v29, v27
	s_cbranch_scc1 .LBB2_336
.LBB2_337:                              ;   in Loop: Header=BB2_298 Depth=2
	s_wait_xcnt 0x0
	s_mov_b64 s[22:23], s[2:3]
	s_mov_b32 s28, 0
	s_cbranch_execz .LBB2_339
	s_branch .LBB2_340
.LBB2_338:                              ;   in Loop: Header=BB2_298 Depth=2
	s_wait_xcnt 0x0
	s_add_nc_u64 s[22:23], s[2:3], 8
                                        ; implicit-def: $vgpr26_vgpr27
	s_mov_b32 s28, 0
.LBB2_339:                              ;   in Loop: Header=BB2_298 Depth=2
	global_load_b64 v[26:27], v1, s[2:3]
	s_add_co_i32 s28, s27, -8
.LBB2_340:                              ;   in Loop: Header=BB2_298 Depth=2
	s_delay_alu instid0(SALU_CYCLE_1)
	s_cmp_gt_u32 s28, 7
	s_cbranch_scc1 .LBB2_345
; %bb.341:                              ;   in Loop: Header=BB2_298 Depth=2
	v_mov_b64_e32 v[28:29], 0
	s_cmp_eq_u32 s28, 0
	s_cbranch_scc1 .LBB2_344
; %bb.342:                              ;   in Loop: Header=BB2_298 Depth=2
	s_wait_xcnt 0x0
	s_mov_b64 s[2:3], 0
	s_mov_b64 s[24:25], s[22:23]
.LBB2_343:                              ;   Parent Loop BB2_269 Depth=1
                                        ;     Parent Loop BB2_298 Depth=2
                                        ; =>    This Inner Loop Header: Depth=3
	global_load_u8 v0, v1, s[24:25]
	s_add_co_i32 s28, s28, -1
	s_wait_xcnt 0x0
	s_add_nc_u64 s[24:25], s[24:25], 1
	s_cmp_lg_u32 s28, 0
	s_wait_loadcnt 0x0
	v_and_b32_e32 v0, 0xffff, v0
	s_delay_alu instid0(VALU_DEP_1) | instskip(SKIP_1) | instid1(VALU_DEP_1)
	v_lshlrev_b64_e32 v[30:31], s2, v[0:1]
	s_add_nc_u64 s[2:3], s[2:3], 8
	v_or_b32_e32 v28, v30, v28
	s_delay_alu instid0(VALU_DEP_2)
	v_or_b32_e32 v29, v31, v29
	s_cbranch_scc1 .LBB2_343
.LBB2_344:                              ;   in Loop: Header=BB2_298 Depth=2
	s_wait_xcnt 0x0
	s_cbranch_execz .LBB2_346
	s_branch .LBB2_347
.LBB2_345:                              ;   in Loop: Header=BB2_298 Depth=2
	s_wait_xcnt 0x0
.LBB2_346:                              ;   in Loop: Header=BB2_298 Depth=2
	global_load_b64 v[28:29], v1, s[22:23]
.LBB2_347:                              ;   in Loop: Header=BB2_298 Depth=2
	v_readfirstlane_b32 s2, v46
	v_mov_b64_e32 v[40:41], 0
	s_delay_alu instid0(VALU_DEP_2)
	v_cmp_eq_u32_e64 s2, s2, v46
	s_wait_xcnt 0x0
	s_and_saveexec_b32 s3, s2
	s_cbranch_execz .LBB2_353
; %bb.348:                              ;   in Loop: Header=BB2_298 Depth=2
	global_load_b64 v[32:33], v1, s[20:21] offset:24 scope:SCOPE_SYS
	s_wait_loadcnt 0x0
	global_inv scope:SCOPE_SYS
	s_clause 0x1
	global_load_b64 v[30:31], v1, s[20:21] offset:40
	global_load_b64 v[40:41], v1, s[20:21]
	s_mov_b32 s22, exec_lo
	s_wait_loadcnt 0x1
	v_and_b32_e32 v30, v30, v32
	v_and_b32_e32 v31, v31, v33
	s_delay_alu instid0(VALU_DEP_1) | instskip(SKIP_1) | instid1(VALU_DEP_1)
	v_mul_u64_e32 v[30:31], 24, v[30:31]
	s_wait_loadcnt 0x0
	v_add_nc_u64_e32 v[30:31], v[40:41], v[30:31]
	global_load_b64 v[30:31], v[30:31], off scope:SCOPE_SYS
	s_wait_xcnt 0x0
	s_wait_loadcnt 0x0
	global_atomic_cmpswap_b64 v[40:41], v1, v[30:33], s[20:21] offset:24 th:TH_ATOMIC_RETURN scope:SCOPE_SYS
	s_wait_loadcnt 0x0
	global_inv scope:SCOPE_SYS
	s_wait_xcnt 0x0
	v_cmpx_ne_u64_e64 v[40:41], v[32:33]
	s_cbranch_execz .LBB2_352
; %bb.349:                              ;   in Loop: Header=BB2_298 Depth=2
	s_mov_b32 s23, 0
.LBB2_350:                              ;   Parent Loop BB2_269 Depth=1
                                        ;     Parent Loop BB2_298 Depth=2
                                        ; =>    This Inner Loop Header: Depth=3
	s_sleep 1
	s_clause 0x1
	global_load_b64 v[30:31], v1, s[20:21] offset:40
	global_load_b64 v[42:43], v1, s[20:21]
	v_mov_b64_e32 v[32:33], v[40:41]
	s_wait_loadcnt 0x1
	s_delay_alu instid0(VALU_DEP_1) | instskip(SKIP_1) | instid1(VALU_DEP_1)
	v_and_b32_e32 v0, v30, v32
	s_wait_loadcnt 0x0
	v_mad_nc_u64_u32 v[40:41], v0, 24, v[42:43]
	s_delay_alu instid0(VALU_DEP_3) | instskip(NEXT) | instid1(VALU_DEP_1)
	v_and_b32_e32 v0, v31, v33
	v_mad_u32 v41, v0, 24, v41
	global_load_b64 v[30:31], v[40:41], off scope:SCOPE_SYS
	s_wait_xcnt 0x0
	s_wait_loadcnt 0x0
	global_atomic_cmpswap_b64 v[40:41], v1, v[30:33], s[20:21] offset:24 th:TH_ATOMIC_RETURN scope:SCOPE_SYS
	s_wait_loadcnt 0x0
	global_inv scope:SCOPE_SYS
	v_cmp_eq_u64_e32 vcc_lo, v[40:41], v[32:33]
	s_or_b32 s23, vcc_lo, s23
	s_wait_xcnt 0x0
	s_and_not1_b32 exec_lo, exec_lo, s23
	s_cbranch_execnz .LBB2_350
; %bb.351:                              ;   in Loop: Header=BB2_298 Depth=2
	s_or_b32 exec_lo, exec_lo, s23
.LBB2_352:                              ;   in Loop: Header=BB2_298 Depth=2
	s_delay_alu instid0(SALU_CYCLE_1)
	s_or_b32 exec_lo, exec_lo, s22
.LBB2_353:                              ;   in Loop: Header=BB2_298 Depth=2
	s_delay_alu instid0(SALU_CYCLE_1)
	s_or_b32 exec_lo, exec_lo, s3
	s_clause 0x1
	global_load_b64 v[42:43], v1, s[20:21] offset:40
	global_load_b128 v[30:33], v1, s[20:21]
	v_readfirstlane_b32 s22, v40
	v_readfirstlane_b32 s23, v41
	s_mov_b32 s3, exec_lo
	s_wait_loadcnt 0x1
	v_and_b32_e32 v42, s22, v42
	v_and_b32_e32 v43, s23, v43
	s_delay_alu instid0(VALU_DEP_1) | instskip(SKIP_1) | instid1(VALU_DEP_1)
	v_mul_u64_e32 v[40:41], 24, v[42:43]
	s_wait_loadcnt 0x0
	v_add_nc_u64_e32 v[40:41], v[30:31], v[40:41]
	s_wait_xcnt 0x0
	s_and_saveexec_b32 s24, s2
	s_cbranch_execz .LBB2_355
; %bb.354:                              ;   in Loop: Header=BB2_298 Depth=2
	v_mov_b32_e32 v0, s3
	global_store_b128 v[40:41], v[0:3], off offset:8
.LBB2_355:                              ;   in Loop: Header=BB2_298 Depth=2
	s_wait_xcnt 0x0
	s_or_b32 exec_lo, exec_lo, s24
	v_cmp_lt_u64_e64 vcc_lo, s[10:11], 57
	v_lshlrev_b64_e32 v[42:43], 12, v[42:43]
	v_and_b32_e32 v14, 0xffffff1f, v14
	s_lshl_b32 s3, s14, 2
	s_delay_alu instid0(SALU_CYCLE_1) | instskip(SKIP_1) | instid1(VALU_DEP_3)
	s_add_co_i32 s3, s3, 28
	v_cndmask_b32_e32 v0, 0, v36, vcc_lo
	v_add_nc_u64_e32 v[32:33], v[32:33], v[42:43]
	s_delay_alu instid0(VALU_DEP_2) | instskip(NEXT) | instid1(VALU_DEP_2)
	v_or_b32_e32 v0, v14, v0
	v_readfirstlane_b32 s24, v32
	s_delay_alu instid0(VALU_DEP_3) | instskip(NEXT) | instid1(VALU_DEP_3)
	v_readfirstlane_b32 s25, v33
	v_and_or_b32 v14, 0x1e0, s3, v0
	s_clause 0x3
	global_store_b128 v38, v[14:17], s[24:25]
	global_store_b128 v38, v[18:21], s[24:25] offset:16
	global_store_b128 v38, v[22:25], s[24:25] offset:32
	;; [unrolled: 1-line block ×3, first 2 shown]
	s_wait_xcnt 0x0
	s_and_saveexec_b32 s3, s2
	s_cbranch_execz .LBB2_363
; %bb.356:                              ;   in Loop: Header=BB2_298 Depth=2
	s_clause 0x1
	global_load_b64 v[22:23], v1, s[20:21] offset:32 scope:SCOPE_SYS
	global_load_b64 v[14:15], v1, s[20:21] offset:40
	s_mov_b32 s24, exec_lo
	v_dual_mov_b32 v20, s22 :: v_dual_mov_b32 v21, s23
	s_wait_loadcnt 0x0
	v_and_b32_e32 v15, s23, v15
	v_and_b32_e32 v14, s22, v14
	s_delay_alu instid0(VALU_DEP_1) | instskip(NEXT) | instid1(VALU_DEP_1)
	v_mul_u64_e32 v[14:15], 24, v[14:15]
	v_add_nc_u64_e32 v[18:19], v[30:31], v[14:15]
	global_store_b64 v[18:19], v[22:23], off
	global_wb scope:SCOPE_SYS
	s_wait_storecnt 0x0
	s_wait_xcnt 0x0
	global_atomic_cmpswap_b64 v[16:17], v1, v[20:23], s[20:21] offset:32 th:TH_ATOMIC_RETURN scope:SCOPE_SYS
	s_wait_loadcnt 0x0
	v_cmpx_ne_u64_e64 v[16:17], v[22:23]
	s_cbranch_execz .LBB2_359
; %bb.357:                              ;   in Loop: Header=BB2_298 Depth=2
	s_mov_b32 s25, 0
.LBB2_358:                              ;   Parent Loop BB2_269 Depth=1
                                        ;     Parent Loop BB2_298 Depth=2
                                        ; =>    This Inner Loop Header: Depth=3
	v_dual_mov_b32 v14, s22 :: v_dual_mov_b32 v15, s23
	s_sleep 1
	global_store_b64 v[18:19], v[16:17], off
	global_wb scope:SCOPE_SYS
	s_wait_storecnt 0x0
	s_wait_xcnt 0x0
	global_atomic_cmpswap_b64 v[14:15], v1, v[14:17], s[20:21] offset:32 th:TH_ATOMIC_RETURN scope:SCOPE_SYS
	s_wait_loadcnt 0x0
	v_cmp_eq_u64_e32 vcc_lo, v[14:15], v[16:17]
	v_mov_b64_e32 v[16:17], v[14:15]
	s_or_b32 s25, vcc_lo, s25
	s_delay_alu instid0(SALU_CYCLE_1)
	s_and_not1_b32 exec_lo, exec_lo, s25
	s_cbranch_execnz .LBB2_358
.LBB2_359:                              ;   in Loop: Header=BB2_298 Depth=2
	s_or_b32 exec_lo, exec_lo, s24
	global_load_b64 v[14:15], v1, s[20:21] offset:16
	s_mov_b32 s25, exec_lo
	s_mov_b32 s24, exec_lo
	v_mbcnt_lo_u32_b32 v0, s25, 0
	s_wait_xcnt 0x0
	s_delay_alu instid0(VALU_DEP_1)
	v_cmpx_eq_u32_e32 0, v0
	s_cbranch_execz .LBB2_361
; %bb.360:                              ;   in Loop: Header=BB2_298 Depth=2
	s_bcnt1_i32_b32 s25, s25
	s_delay_alu instid0(SALU_CYCLE_1)
	v_mov_b32_e32 v0, s25
	global_wb scope:SCOPE_SYS
	s_wait_loadcnt 0x0
	s_wait_storecnt 0x0
	global_atomic_add_u64 v[14:15], v[0:1], off offset:8 scope:SCOPE_SYS
.LBB2_361:                              ;   in Loop: Header=BB2_298 Depth=2
	s_wait_xcnt 0x0
	s_or_b32 exec_lo, exec_lo, s24
	s_wait_loadcnt 0x0
	global_load_b64 v[16:17], v[14:15], off offset:16
	s_wait_loadcnt 0x0
	v_cmp_eq_u64_e32 vcc_lo, 0, v[16:17]
	s_cbranch_vccnz .LBB2_363
; %bb.362:                              ;   in Loop: Header=BB2_298 Depth=2
	global_load_b32 v0, v[14:15], off offset:24
	s_wait_loadcnt 0x0
	v_readfirstlane_b32 s24, v0
	global_wb scope:SCOPE_SYS
	s_wait_storecnt 0x0
	s_wait_xcnt 0x0
	global_store_b64 v[16:17], v[0:1], off scope:SCOPE_SYS
	s_and_b32 m0, s24, 0xffffff
	s_sendmsg sendmsg(MSG_INTERRUPT)
.LBB2_363:                              ;   in Loop: Header=BB2_298 Depth=2
	s_wait_xcnt 0x0
	s_or_b32 exec_lo, exec_lo, s3
	v_mov_b32_e32 v39, v1
	s_delay_alu instid0(VALU_DEP_1)
	v_add_nc_u64_e32 v[14:15], v[32:33], v[38:39]
	s_branch .LBB2_367
.LBB2_364:                              ;   in Loop: Header=BB2_367 Depth=3
	s_wait_xcnt 0x0
	s_or_b32 exec_lo, exec_lo, s3
	s_delay_alu instid0(VALU_DEP_1)
	v_readfirstlane_b32 s3, v0
	s_cmp_eq_u32 s3, 0
	s_cbranch_scc1 .LBB2_366
; %bb.365:                              ;   in Loop: Header=BB2_367 Depth=3
	s_sleep 1
	s_cbranch_execnz .LBB2_367
	s_branch .LBB2_369
.LBB2_366:                              ;   in Loop: Header=BB2_298 Depth=2
	s_branch .LBB2_369
.LBB2_367:                              ;   Parent Loop BB2_269 Depth=1
                                        ;     Parent Loop BB2_298 Depth=2
                                        ; =>    This Inner Loop Header: Depth=3
	v_mov_b32_e32 v0, 1
	s_and_saveexec_b32 s3, s2
	s_cbranch_execz .LBB2_364
; %bb.368:                              ;   in Loop: Header=BB2_367 Depth=3
	global_load_b32 v0, v[40:41], off offset:20 scope:SCOPE_SYS
	s_wait_loadcnt 0x0
	global_inv scope:SCOPE_SYS
	v_and_b32_e32 v0, 1, v0
	s_branch .LBB2_364
.LBB2_369:                              ;   in Loop: Header=BB2_298 Depth=2
	global_load_b64 v[14:15], v[14:15], off
	s_wait_xcnt 0x0
	s_and_saveexec_b32 s24, s2
	s_cbranch_execz .LBB2_297
; %bb.370:                              ;   in Loop: Header=BB2_298 Depth=2
	s_clause 0x2
	global_load_b64 v[16:17], v1, s[20:21] offset:40
	global_load_b64 v[24:25], v1, s[20:21] offset:24 scope:SCOPE_SYS
	global_load_b64 v[18:19], v1, s[20:21]
	s_wait_loadcnt 0x2
	v_readfirstlane_b32 s28, v16
	v_readfirstlane_b32 s29, v17
	s_add_nc_u64 s[2:3], s[28:29], 1
	s_delay_alu instid0(SALU_CYCLE_1) | instskip(NEXT) | instid1(SALU_CYCLE_1)
	s_add_nc_u64 s[22:23], s[2:3], s[22:23]
	s_cmp_eq_u64 s[22:23], 0
	s_cselect_b32 s3, s3, s23
	s_cselect_b32 s2, s2, s22
	s_delay_alu instid0(SALU_CYCLE_1) | instskip(SKIP_1) | instid1(SALU_CYCLE_1)
	v_dual_mov_b32 v23, s3 :: v_dual_mov_b32 v22, s2
	s_and_b64 s[22:23], s[2:3], s[28:29]
	s_mul_u64 s[22:23], s[22:23], 24
	s_wait_loadcnt 0x0
	v_add_nc_u64_e32 v[20:21], s[22:23], v[18:19]
	global_store_b64 v[20:21], v[24:25], off
	global_wb scope:SCOPE_SYS
	s_wait_storecnt 0x0
	s_wait_xcnt 0x0
	global_atomic_cmpswap_b64 v[18:19], v1, v[22:25], s[20:21] offset:24 th:TH_ATOMIC_RETURN scope:SCOPE_SYS
	s_wait_loadcnt 0x0
	v_cmp_ne_u64_e32 vcc_lo, v[18:19], v[24:25]
	s_and_b32 exec_lo, exec_lo, vcc_lo
	s_cbranch_execz .LBB2_297
; %bb.371:                              ;   in Loop: Header=BB2_298 Depth=2
	s_mov_b32 s22, 0
.LBB2_372:                              ;   Parent Loop BB2_269 Depth=1
                                        ;     Parent Loop BB2_298 Depth=2
                                        ; =>    This Inner Loop Header: Depth=3
	v_dual_mov_b32 v16, s2 :: v_dual_mov_b32 v17, s3
	s_sleep 1
	global_store_b64 v[20:21], v[18:19], off
	global_wb scope:SCOPE_SYS
	s_wait_storecnt 0x0
	s_wait_xcnt 0x0
	global_atomic_cmpswap_b64 v[16:17], v1, v[16:19], s[20:21] offset:24 th:TH_ATOMIC_RETURN scope:SCOPE_SYS
	s_wait_loadcnt 0x0
	v_cmp_eq_u64_e32 vcc_lo, v[16:17], v[18:19]
	v_mov_b64_e32 v[18:19], v[16:17]
	s_or_b32 s22, vcc_lo, s22
	s_delay_alu instid0(SALU_CYCLE_1)
	s_and_not1_b32 exec_lo, exec_lo, s22
	s_cbranch_execnz .LBB2_372
	s_branch .LBB2_297
.LBB2_373:                              ;   in Loop: Header=BB2_269 Depth=1
	s_branch .LBB2_402
.LBB2_374:                              ;   in Loop: Header=BB2_269 Depth=1
                                        ; implicit-def: $vgpr14_vgpr15
	s_cbranch_execz .LBB2_402
; %bb.375:                              ;   in Loop: Header=BB2_269 Depth=1
	v_readfirstlane_b32 s2, v46
	s_wait_loadcnt 0x0
	v_mov_b64_e32 v[14:15], 0
	s_delay_alu instid0(VALU_DEP_2)
	v_cmp_eq_u32_e64 s2, s2, v46
	s_and_saveexec_b32 s3, s2
	s_cbranch_execz .LBB2_381
; %bb.376:                              ;   in Loop: Header=BB2_269 Depth=1
	global_load_b64 v[16:17], v1, s[20:21] offset:24 scope:SCOPE_SYS
	s_wait_loadcnt 0x0
	global_inv scope:SCOPE_SYS
	s_clause 0x1
	global_load_b64 v[14:15], v1, s[20:21] offset:40
	global_load_b64 v[18:19], v1, s[20:21]
	s_mov_b32 s10, exec_lo
	s_wait_loadcnt 0x1
	v_and_b32_e32 v14, v14, v16
	v_and_b32_e32 v15, v15, v17
	s_delay_alu instid0(VALU_DEP_1) | instskip(SKIP_1) | instid1(VALU_DEP_1)
	v_mul_u64_e32 v[14:15], 24, v[14:15]
	s_wait_loadcnt 0x0
	v_add_nc_u64_e32 v[14:15], v[18:19], v[14:15]
	global_load_b64 v[14:15], v[14:15], off scope:SCOPE_SYS
	s_wait_xcnt 0x0
	s_wait_loadcnt 0x0
	global_atomic_cmpswap_b64 v[14:15], v1, v[14:17], s[20:21] offset:24 th:TH_ATOMIC_RETURN scope:SCOPE_SYS
	s_wait_loadcnt 0x0
	global_inv scope:SCOPE_SYS
	s_wait_xcnt 0x0
	v_cmpx_ne_u64_e64 v[14:15], v[16:17]
	s_cbranch_execz .LBB2_380
; %bb.377:                              ;   in Loop: Header=BB2_269 Depth=1
	s_mov_b32 s11, 0
.LBB2_378:                              ;   Parent Loop BB2_269 Depth=1
                                        ; =>  This Inner Loop Header: Depth=2
	s_sleep 1
	s_clause 0x1
	global_load_b64 v[18:19], v1, s[20:21] offset:40
	global_load_b64 v[20:21], v1, s[20:21]
	v_mov_b64_e32 v[16:17], v[14:15]
	s_wait_loadcnt 0x1
	s_delay_alu instid0(VALU_DEP_1) | instskip(SKIP_1) | instid1(VALU_DEP_1)
	v_and_b32_e32 v0, v18, v16
	s_wait_loadcnt 0x0
	v_mad_nc_u64_u32 v[14:15], v0, 24, v[20:21]
	s_delay_alu instid0(VALU_DEP_3) | instskip(NEXT) | instid1(VALU_DEP_1)
	v_and_b32_e32 v0, v19, v17
	v_mad_u32 v15, v0, 24, v15
	global_load_b64 v[14:15], v[14:15], off scope:SCOPE_SYS
	s_wait_xcnt 0x0
	s_wait_loadcnt 0x0
	global_atomic_cmpswap_b64 v[14:15], v1, v[14:17], s[20:21] offset:24 th:TH_ATOMIC_RETURN scope:SCOPE_SYS
	s_wait_loadcnt 0x0
	global_inv scope:SCOPE_SYS
	v_cmp_eq_u64_e32 vcc_lo, v[14:15], v[16:17]
	s_or_b32 s11, vcc_lo, s11
	s_wait_xcnt 0x0
	s_and_not1_b32 exec_lo, exec_lo, s11
	s_cbranch_execnz .LBB2_378
; %bb.379:                              ;   in Loop: Header=BB2_269 Depth=1
	s_or_b32 exec_lo, exec_lo, s11
.LBB2_380:                              ;   in Loop: Header=BB2_269 Depth=1
	s_delay_alu instid0(SALU_CYCLE_1)
	s_or_b32 exec_lo, exec_lo, s10
.LBB2_381:                              ;   in Loop: Header=BB2_269 Depth=1
	s_delay_alu instid0(SALU_CYCLE_1)
	s_or_b32 exec_lo, exec_lo, s3
	s_clause 0x1
	global_load_b64 v[20:21], v1, s[20:21] offset:40
	global_load_b128 v[16:19], v1, s[20:21]
	v_readfirstlane_b32 s10, v14
	v_readfirstlane_b32 s11, v15
	s_mov_b32 s3, exec_lo
	s_wait_loadcnt 0x1
	v_and_b32_e32 v14, s10, v20
	v_and_b32_e32 v15, s11, v21
	s_delay_alu instid0(VALU_DEP_1) | instskip(SKIP_1) | instid1(VALU_DEP_1)
	v_mul_u64_e32 v[20:21], 24, v[14:15]
	s_wait_loadcnt 0x0
	v_add_nc_u64_e32 v[20:21], v[16:17], v[20:21]
	s_wait_xcnt 0x0
	s_and_saveexec_b32 s12, s2
	s_cbranch_execz .LBB2_383
; %bb.382:                              ;   in Loop: Header=BB2_269 Depth=1
	v_mov_b32_e32 v0, s3
	global_store_b128 v[20:21], v[0:3], off offset:8
.LBB2_383:                              ;   in Loop: Header=BB2_269 Depth=1
	s_wait_xcnt 0x0
	s_or_b32 exec_lo, exec_lo, s12
	v_lshlrev_b64_e32 v[14:15], 12, v[14:15]
	v_mov_b64_e32 v[24:25], s[6:7]
	v_mov_b64_e32 v[22:23], s[4:5]
	v_and_or_b32 v12, 0xffffff1f, v12, 32
	s_delay_alu instid0(VALU_DEP_4) | instskip(SKIP_1) | instid1(VALU_DEP_2)
	v_add_nc_u64_e32 v[18:19], v[18:19], v[14:15]
	v_dual_mov_b32 v14, v1 :: v_dual_mov_b32 v15, v1
	v_readfirstlane_b32 s12, v18
	s_delay_alu instid0(VALU_DEP_3)
	v_readfirstlane_b32 s13, v19
	s_clause 0x3
	global_store_b128 v38, v[12:15], s[12:13]
	global_store_b128 v38, v[22:25], s[12:13] offset:16
	global_store_b128 v38, v[22:25], s[12:13] offset:32
	;; [unrolled: 1-line block ×3, first 2 shown]
	s_wait_xcnt 0x0
	s_and_saveexec_b32 s3, s2
	s_cbranch_execz .LBB2_391
; %bb.384:                              ;   in Loop: Header=BB2_269 Depth=1
	s_clause 0x1
	global_load_b64 v[24:25], v1, s[20:21] offset:32 scope:SCOPE_SYS
	global_load_b64 v[12:13], v1, s[20:21] offset:40
	s_mov_b32 s12, exec_lo
	v_dual_mov_b32 v22, s10 :: v_dual_mov_b32 v23, s11
	s_wait_loadcnt 0x0
	v_and_b32_e32 v13, s11, v13
	v_and_b32_e32 v12, s10, v12
	s_delay_alu instid0(VALU_DEP_1) | instskip(NEXT) | instid1(VALU_DEP_1)
	v_mul_u64_e32 v[12:13], 24, v[12:13]
	v_add_nc_u64_e32 v[16:17], v[16:17], v[12:13]
	global_store_b64 v[16:17], v[24:25], off
	global_wb scope:SCOPE_SYS
	s_wait_storecnt 0x0
	s_wait_xcnt 0x0
	global_atomic_cmpswap_b64 v[14:15], v1, v[22:25], s[20:21] offset:32 th:TH_ATOMIC_RETURN scope:SCOPE_SYS
	s_wait_loadcnt 0x0
	v_cmpx_ne_u64_e64 v[14:15], v[24:25]
	s_cbranch_execz .LBB2_387
; %bb.385:                              ;   in Loop: Header=BB2_269 Depth=1
	s_mov_b32 s13, 0
.LBB2_386:                              ;   Parent Loop BB2_269 Depth=1
                                        ; =>  This Inner Loop Header: Depth=2
	v_dual_mov_b32 v12, s10 :: v_dual_mov_b32 v13, s11
	s_sleep 1
	global_store_b64 v[16:17], v[14:15], off
	global_wb scope:SCOPE_SYS
	s_wait_storecnt 0x0
	s_wait_xcnt 0x0
	global_atomic_cmpswap_b64 v[12:13], v1, v[12:15], s[20:21] offset:32 th:TH_ATOMIC_RETURN scope:SCOPE_SYS
	s_wait_loadcnt 0x0
	v_cmp_eq_u64_e32 vcc_lo, v[12:13], v[14:15]
	v_mov_b64_e32 v[14:15], v[12:13]
	s_or_b32 s13, vcc_lo, s13
	s_delay_alu instid0(SALU_CYCLE_1)
	s_and_not1_b32 exec_lo, exec_lo, s13
	s_cbranch_execnz .LBB2_386
.LBB2_387:                              ;   in Loop: Header=BB2_269 Depth=1
	s_or_b32 exec_lo, exec_lo, s12
	global_load_b64 v[12:13], v1, s[20:21] offset:16
	s_mov_b32 s13, exec_lo
	s_mov_b32 s12, exec_lo
	v_mbcnt_lo_u32_b32 v0, s13, 0
	s_wait_xcnt 0x0
	s_delay_alu instid0(VALU_DEP_1)
	v_cmpx_eq_u32_e32 0, v0
	s_cbranch_execz .LBB2_389
; %bb.388:                              ;   in Loop: Header=BB2_269 Depth=1
	s_bcnt1_i32_b32 s13, s13
	s_delay_alu instid0(SALU_CYCLE_1)
	v_mov_b32_e32 v0, s13
	global_wb scope:SCOPE_SYS
	s_wait_loadcnt 0x0
	s_wait_storecnt 0x0
	global_atomic_add_u64 v[12:13], v[0:1], off offset:8 scope:SCOPE_SYS
.LBB2_389:                              ;   in Loop: Header=BB2_269 Depth=1
	s_wait_xcnt 0x0
	s_or_b32 exec_lo, exec_lo, s12
	s_wait_loadcnt 0x0
	global_load_b64 v[14:15], v[12:13], off offset:16
	s_wait_loadcnt 0x0
	v_cmp_eq_u64_e32 vcc_lo, 0, v[14:15]
	s_cbranch_vccnz .LBB2_391
; %bb.390:                              ;   in Loop: Header=BB2_269 Depth=1
	global_load_b32 v0, v[12:13], off offset:24
	s_wait_loadcnt 0x0
	v_readfirstlane_b32 s12, v0
	global_wb scope:SCOPE_SYS
	s_wait_storecnt 0x0
	s_wait_xcnt 0x0
	global_store_b64 v[14:15], v[0:1], off scope:SCOPE_SYS
	s_and_b32 m0, s12, 0xffffff
	s_sendmsg sendmsg(MSG_INTERRUPT)
.LBB2_391:                              ;   in Loop: Header=BB2_269 Depth=1
	s_wait_xcnt 0x0
	s_or_b32 exec_lo, exec_lo, s3
	v_mov_b32_e32 v39, v1
	s_delay_alu instid0(VALU_DEP_1)
	v_add_nc_u64_e32 v[12:13], v[18:19], v[38:39]
	s_branch .LBB2_395
.LBB2_392:                              ;   in Loop: Header=BB2_395 Depth=2
	s_wait_xcnt 0x0
	s_or_b32 exec_lo, exec_lo, s3
	s_delay_alu instid0(VALU_DEP_1)
	v_readfirstlane_b32 s3, v0
	s_cmp_eq_u32 s3, 0
	s_cbranch_scc1 .LBB2_394
; %bb.393:                              ;   in Loop: Header=BB2_395 Depth=2
	s_sleep 1
	s_cbranch_execnz .LBB2_395
	s_branch .LBB2_397
.LBB2_394:                              ;   in Loop: Header=BB2_269 Depth=1
	s_branch .LBB2_397
.LBB2_395:                              ;   Parent Loop BB2_269 Depth=1
                                        ; =>  This Inner Loop Header: Depth=2
	v_mov_b32_e32 v0, 1
	s_and_saveexec_b32 s3, s2
	s_cbranch_execz .LBB2_392
; %bb.396:                              ;   in Loop: Header=BB2_395 Depth=2
	global_load_b32 v0, v[20:21], off offset:20 scope:SCOPE_SYS
	s_wait_loadcnt 0x0
	global_inv scope:SCOPE_SYS
	v_and_b32_e32 v0, 1, v0
	s_branch .LBB2_392
.LBB2_397:                              ;   in Loop: Header=BB2_269 Depth=1
	global_load_b64 v[14:15], v[12:13], off
	s_wait_xcnt 0x0
	s_and_saveexec_b32 s12, s2
	s_cbranch_execz .LBB2_401
; %bb.398:                              ;   in Loop: Header=BB2_269 Depth=1
	s_clause 0x2
	global_load_b64 v[12:13], v1, s[20:21] offset:40
	global_load_b64 v[20:21], v1, s[20:21] offset:24 scope:SCOPE_SYS
	global_load_b64 v[16:17], v1, s[20:21]
	s_wait_loadcnt 0x2
	v_readfirstlane_b32 s14, v12
	v_readfirstlane_b32 s15, v13
	s_add_nc_u64 s[2:3], s[14:15], 1
	s_delay_alu instid0(SALU_CYCLE_1) | instskip(NEXT) | instid1(SALU_CYCLE_1)
	s_add_nc_u64 s[10:11], s[2:3], s[10:11]
	s_cmp_eq_u64 s[10:11], 0
	s_cselect_b32 s3, s3, s11
	s_cselect_b32 s2, s2, s10
	s_delay_alu instid0(SALU_CYCLE_1) | instskip(SKIP_1) | instid1(SALU_CYCLE_1)
	v_dual_mov_b32 v19, s3 :: v_dual_mov_b32 v18, s2
	s_and_b64 s[10:11], s[2:3], s[14:15]
	s_mul_u64 s[10:11], s[10:11], 24
	s_wait_loadcnt 0x0
	v_add_nc_u64_e32 v[12:13], s[10:11], v[16:17]
	global_store_b64 v[12:13], v[20:21], off
	global_wb scope:SCOPE_SYS
	s_wait_storecnt 0x0
	s_wait_xcnt 0x0
	global_atomic_cmpswap_b64 v[18:19], v1, v[18:21], s[20:21] offset:24 th:TH_ATOMIC_RETURN scope:SCOPE_SYS
	s_wait_loadcnt 0x0
	v_cmp_ne_u64_e32 vcc_lo, v[18:19], v[20:21]
	s_and_b32 exec_lo, exec_lo, vcc_lo
	s_cbranch_execz .LBB2_401
; %bb.399:                              ;   in Loop: Header=BB2_269 Depth=1
	s_mov_b32 s10, 0
.LBB2_400:                              ;   Parent Loop BB2_269 Depth=1
                                        ; =>  This Inner Loop Header: Depth=2
	v_dual_mov_b32 v16, s2 :: v_dual_mov_b32 v17, s3
	s_sleep 1
	global_store_b64 v[12:13], v[18:19], off
	global_wb scope:SCOPE_SYS
	s_wait_storecnt 0x0
	s_wait_xcnt 0x0
	global_atomic_cmpswap_b64 v[16:17], v1, v[16:19], s[20:21] offset:24 th:TH_ATOMIC_RETURN scope:SCOPE_SYS
	s_wait_loadcnt 0x0
	v_cmp_eq_u64_e32 vcc_lo, v[16:17], v[18:19]
	v_mov_b64_e32 v[18:19], v[16:17]
	s_or_b32 s10, vcc_lo, s10
	s_delay_alu instid0(SALU_CYCLE_1)
	s_and_not1_b32 exec_lo, exec_lo, s10
	s_cbranch_execnz .LBB2_400
.LBB2_401:                              ;   in Loop: Header=BB2_269 Depth=1
	s_or_b32 exec_lo, exec_lo, s12
.LBB2_402:                              ;   in Loop: Header=BB2_269 Depth=1
	v_readfirstlane_b32 s2, v46
	s_wait_loadcnt 0x0
	v_mov_b64_e32 v[12:13], 0
	s_delay_alu instid0(VALU_DEP_2)
	v_cmp_eq_u32_e64 s2, s2, v46
	s_and_saveexec_b32 s3, s2
	s_cbranch_execz .LBB2_408
; %bb.403:                              ;   in Loop: Header=BB2_269 Depth=1
	global_load_b64 v[18:19], v1, s[20:21] offset:24 scope:SCOPE_SYS
	s_wait_loadcnt 0x0
	global_inv scope:SCOPE_SYS
	s_clause 0x1
	global_load_b64 v[12:13], v1, s[20:21] offset:40
	global_load_b64 v[16:17], v1, s[20:21]
	s_mov_b32 s10, exec_lo
	s_wait_loadcnt 0x1
	v_and_b32_e32 v12, v12, v18
	v_and_b32_e32 v13, v13, v19
	s_delay_alu instid0(VALU_DEP_1) | instskip(SKIP_1) | instid1(VALU_DEP_1)
	v_mul_u64_e32 v[12:13], 24, v[12:13]
	s_wait_loadcnt 0x0
	v_add_nc_u64_e32 v[12:13], v[16:17], v[12:13]
	global_load_b64 v[16:17], v[12:13], off scope:SCOPE_SYS
	s_wait_xcnt 0x0
	s_wait_loadcnt 0x0
	global_atomic_cmpswap_b64 v[12:13], v1, v[16:19], s[20:21] offset:24 th:TH_ATOMIC_RETURN scope:SCOPE_SYS
	s_wait_loadcnt 0x0
	global_inv scope:SCOPE_SYS
	s_wait_xcnt 0x0
	v_cmpx_ne_u64_e64 v[12:13], v[18:19]
	s_cbranch_execz .LBB2_407
; %bb.404:                              ;   in Loop: Header=BB2_269 Depth=1
	s_mov_b32 s11, 0
.LBB2_405:                              ;   Parent Loop BB2_269 Depth=1
                                        ; =>  This Inner Loop Header: Depth=2
	s_sleep 1
	s_clause 0x1
	global_load_b64 v[16:17], v1, s[20:21] offset:40
	global_load_b64 v[20:21], v1, s[20:21]
	v_mov_b64_e32 v[18:19], v[12:13]
	s_wait_loadcnt 0x1
	s_delay_alu instid0(VALU_DEP_1) | instskip(SKIP_1) | instid1(VALU_DEP_1)
	v_and_b32_e32 v0, v16, v18
	s_wait_loadcnt 0x0
	v_mad_nc_u64_u32 v[12:13], v0, 24, v[20:21]
	s_delay_alu instid0(VALU_DEP_3) | instskip(NEXT) | instid1(VALU_DEP_1)
	v_and_b32_e32 v0, v17, v19
	v_mad_u32 v13, v0, 24, v13
	global_load_b64 v[16:17], v[12:13], off scope:SCOPE_SYS
	s_wait_xcnt 0x0
	s_wait_loadcnt 0x0
	global_atomic_cmpswap_b64 v[12:13], v1, v[16:19], s[20:21] offset:24 th:TH_ATOMIC_RETURN scope:SCOPE_SYS
	s_wait_loadcnt 0x0
	global_inv scope:SCOPE_SYS
	v_cmp_eq_u64_e32 vcc_lo, v[12:13], v[18:19]
	s_or_b32 s11, vcc_lo, s11
	s_wait_xcnt 0x0
	s_and_not1_b32 exec_lo, exec_lo, s11
	s_cbranch_execnz .LBB2_405
; %bb.406:                              ;   in Loop: Header=BB2_269 Depth=1
	s_or_b32 exec_lo, exec_lo, s11
.LBB2_407:                              ;   in Loop: Header=BB2_269 Depth=1
	s_delay_alu instid0(SALU_CYCLE_1)
	s_or_b32 exec_lo, exec_lo, s10
.LBB2_408:                              ;   in Loop: Header=BB2_269 Depth=1
	s_delay_alu instid0(SALU_CYCLE_1)
	s_or_b32 exec_lo, exec_lo, s3
	s_clause 0x1
	global_load_b64 v[16:17], v1, s[20:21] offset:40
	global_load_b128 v[18:21], v1, s[20:21]
	v_readfirstlane_b32 s10, v12
	v_readfirstlane_b32 s11, v13
	s_mov_b32 s3, exec_lo
	s_wait_loadcnt 0x1
	v_and_b32_e32 v12, s10, v16
	v_and_b32_e32 v13, s11, v17
	s_delay_alu instid0(VALU_DEP_1) | instskip(SKIP_1) | instid1(VALU_DEP_1)
	v_mul_u64_e32 v[16:17], 24, v[12:13]
	s_wait_loadcnt 0x0
	v_add_nc_u64_e32 v[22:23], v[18:19], v[16:17]
	s_wait_xcnt 0x0
	s_and_saveexec_b32 s12, s2
	s_cbranch_execz .LBB2_410
; %bb.409:                              ;   in Loop: Header=BB2_269 Depth=1
	v_mov_b32_e32 v0, s3
	global_store_b128 v[22:23], v[0:3], off offset:8
.LBB2_410:                              ;   in Loop: Header=BB2_269 Depth=1
	s_wait_xcnt 0x0
	s_or_b32 exec_lo, exec_lo, s12
	v_lshlrev_b64_e32 v[12:13], 12, v[12:13]
	v_mov_b64_e32 v[26:27], s[6:7]
	v_mov_b64_e32 v[24:25], s[4:5]
	v_and_or_b32 v14, 0xffffff1d, v14, 34
	v_dual_mov_b32 v16, s26 :: v_dual_mov_b32 v17, v1
	v_add_nc_u64_e32 v[12:13], v[20:21], v[12:13]
	s_delay_alu instid0(VALU_DEP_1) | instskip(NEXT) | instid1(VALU_DEP_2)
	v_readfirstlane_b32 s12, v12
	v_readfirstlane_b32 s13, v13
	s_clause 0x3
	global_store_b128 v38, v[14:17], s[12:13]
	global_store_b128 v38, v[24:27], s[12:13] offset:16
	global_store_b128 v38, v[24:27], s[12:13] offset:32
	;; [unrolled: 1-line block ×3, first 2 shown]
	s_wait_xcnt 0x0
	s_and_saveexec_b32 s3, s2
	s_cbranch_execz .LBB2_418
; %bb.411:                              ;   in Loop: Header=BB2_269 Depth=1
	s_clause 0x1
	global_load_b64 v[20:21], v1, s[20:21] offset:32 scope:SCOPE_SYS
	global_load_b64 v[12:13], v1, s[20:21] offset:40
	s_mov_b32 s12, exec_lo
	s_wait_loadcnt 0x0
	v_and_b32_e32 v12, s10, v12
	v_and_b32_e32 v13, s11, v13
	s_delay_alu instid0(VALU_DEP_1) | instskip(NEXT) | instid1(VALU_DEP_1)
	v_mul_u64_e32 v[12:13], 24, v[12:13]
	v_add_nc_u64_e32 v[16:17], v[18:19], v[12:13]
	v_dual_mov_b32 v18, s10 :: v_dual_mov_b32 v19, s11
	global_store_b64 v[16:17], v[20:21], off
	global_wb scope:SCOPE_SYS
	s_wait_storecnt 0x0
	s_wait_xcnt 0x0
	global_atomic_cmpswap_b64 v[14:15], v1, v[18:21], s[20:21] offset:32 th:TH_ATOMIC_RETURN scope:SCOPE_SYS
	s_wait_loadcnt 0x0
	v_cmpx_ne_u64_e64 v[14:15], v[20:21]
	s_cbranch_execz .LBB2_414
; %bb.412:                              ;   in Loop: Header=BB2_269 Depth=1
	s_mov_b32 s13, 0
.LBB2_413:                              ;   Parent Loop BB2_269 Depth=1
                                        ; =>  This Inner Loop Header: Depth=2
	v_dual_mov_b32 v12, s10 :: v_dual_mov_b32 v13, s11
	s_sleep 1
	global_store_b64 v[16:17], v[14:15], off
	global_wb scope:SCOPE_SYS
	s_wait_storecnt 0x0
	s_wait_xcnt 0x0
	global_atomic_cmpswap_b64 v[12:13], v1, v[12:15], s[20:21] offset:32 th:TH_ATOMIC_RETURN scope:SCOPE_SYS
	s_wait_loadcnt 0x0
	v_cmp_eq_u64_e32 vcc_lo, v[12:13], v[14:15]
	v_mov_b64_e32 v[14:15], v[12:13]
	s_or_b32 s13, vcc_lo, s13
	s_delay_alu instid0(SALU_CYCLE_1)
	s_and_not1_b32 exec_lo, exec_lo, s13
	s_cbranch_execnz .LBB2_413
.LBB2_414:                              ;   in Loop: Header=BB2_269 Depth=1
	s_or_b32 exec_lo, exec_lo, s12
	global_load_b64 v[12:13], v1, s[20:21] offset:16
	s_mov_b32 s13, exec_lo
	s_mov_b32 s12, exec_lo
	v_mbcnt_lo_u32_b32 v0, s13, 0
	s_wait_xcnt 0x0
	s_delay_alu instid0(VALU_DEP_1)
	v_cmpx_eq_u32_e32 0, v0
	s_cbranch_execz .LBB2_416
; %bb.415:                              ;   in Loop: Header=BB2_269 Depth=1
	s_bcnt1_i32_b32 s13, s13
	s_delay_alu instid0(SALU_CYCLE_1)
	v_mov_b32_e32 v0, s13
	global_wb scope:SCOPE_SYS
	s_wait_loadcnt 0x0
	s_wait_storecnt 0x0
	global_atomic_add_u64 v[12:13], v[0:1], off offset:8 scope:SCOPE_SYS
.LBB2_416:                              ;   in Loop: Header=BB2_269 Depth=1
	s_wait_xcnt 0x0
	s_or_b32 exec_lo, exec_lo, s12
	s_wait_loadcnt 0x0
	global_load_b64 v[14:15], v[12:13], off offset:16
	s_wait_loadcnt 0x0
	v_cmp_eq_u64_e32 vcc_lo, 0, v[14:15]
	s_cbranch_vccnz .LBB2_418
; %bb.417:                              ;   in Loop: Header=BB2_269 Depth=1
	global_load_b32 v0, v[12:13], off offset:24
	s_wait_loadcnt 0x0
	v_readfirstlane_b32 s12, v0
	global_wb scope:SCOPE_SYS
	s_wait_storecnt 0x0
	s_wait_xcnt 0x0
	global_store_b64 v[14:15], v[0:1], off scope:SCOPE_SYS
	s_and_b32 m0, s12, 0xffffff
	s_sendmsg sendmsg(MSG_INTERRUPT)
.LBB2_418:                              ;   in Loop: Header=BB2_269 Depth=1
	s_wait_xcnt 0x0
	s_or_b32 exec_lo, exec_lo, s3
	s_branch .LBB2_422
.LBB2_419:                              ;   in Loop: Header=BB2_422 Depth=2
	s_wait_xcnt 0x0
	s_or_b32 exec_lo, exec_lo, s3
	s_delay_alu instid0(VALU_DEP_1)
	v_readfirstlane_b32 s3, v0
	s_cmp_eq_u32 s3, 0
	s_cbranch_scc1 .LBB2_421
; %bb.420:                              ;   in Loop: Header=BB2_422 Depth=2
	s_sleep 1
	s_cbranch_execnz .LBB2_422
	s_branch .LBB2_424
.LBB2_421:                              ;   in Loop: Header=BB2_269 Depth=1
	s_branch .LBB2_424
.LBB2_422:                              ;   Parent Loop BB2_269 Depth=1
                                        ; =>  This Inner Loop Header: Depth=2
	v_mov_b32_e32 v0, 1
	s_and_saveexec_b32 s3, s2
	s_cbranch_execz .LBB2_419
; %bb.423:                              ;   in Loop: Header=BB2_422 Depth=2
	global_load_b32 v0, v[22:23], off offset:20 scope:SCOPE_SYS
	s_wait_loadcnt 0x0
	global_inv scope:SCOPE_SYS
	v_and_b32_e32 v0, 1, v0
	s_branch .LBB2_419
.LBB2_424:                              ;   in Loop: Header=BB2_269 Depth=1
	s_and_saveexec_b32 s12, s2
	s_cbranch_execz .LBB2_268
; %bb.425:                              ;   in Loop: Header=BB2_269 Depth=1
	s_clause 0x2
	global_load_b64 v[12:13], v1, s[20:21] offset:40
	global_load_b64 v[20:21], v1, s[20:21] offset:24 scope:SCOPE_SYS
	global_load_b64 v[14:15], v1, s[20:21]
	s_wait_loadcnt 0x2
	v_readfirstlane_b32 s14, v12
	v_readfirstlane_b32 s15, v13
	s_add_nc_u64 s[2:3], s[14:15], 1
	s_delay_alu instid0(SALU_CYCLE_1) | instskip(NEXT) | instid1(SALU_CYCLE_1)
	s_add_nc_u64 s[10:11], s[2:3], s[10:11]
	s_cmp_eq_u64 s[10:11], 0
	s_cselect_b32 s3, s3, s11
	s_cselect_b32 s2, s2, s10
	s_delay_alu instid0(SALU_CYCLE_1) | instskip(SKIP_1) | instid1(SALU_CYCLE_1)
	v_dual_mov_b32 v19, s3 :: v_dual_mov_b32 v18, s2
	s_and_b64 s[10:11], s[2:3], s[14:15]
	s_mul_u64 s[10:11], s[10:11], 24
	s_wait_loadcnt 0x0
	v_add_nc_u64_e32 v[16:17], s[10:11], v[14:15]
	global_store_b64 v[16:17], v[20:21], off
	global_wb scope:SCOPE_SYS
	s_wait_storecnt 0x0
	s_wait_xcnt 0x0
	global_atomic_cmpswap_b64 v[14:15], v1, v[18:21], s[20:21] offset:24 th:TH_ATOMIC_RETURN scope:SCOPE_SYS
	s_wait_loadcnt 0x0
	v_cmp_ne_u64_e32 vcc_lo, v[14:15], v[20:21]
	s_and_b32 exec_lo, exec_lo, vcc_lo
	s_cbranch_execz .LBB2_268
; %bb.426:                              ;   in Loop: Header=BB2_269 Depth=1
	s_mov_b32 s10, 0
.LBB2_427:                              ;   Parent Loop BB2_269 Depth=1
                                        ; =>  This Inner Loop Header: Depth=2
	v_dual_mov_b32 v12, s2 :: v_dual_mov_b32 v13, s3
	s_sleep 1
	global_store_b64 v[16:17], v[14:15], off
	global_wb scope:SCOPE_SYS
	s_wait_storecnt 0x0
	s_wait_xcnt 0x0
	global_atomic_cmpswap_b64 v[12:13], v1, v[12:15], s[20:21] offset:24 th:TH_ATOMIC_RETURN scope:SCOPE_SYS
	s_wait_loadcnt 0x0
	v_cmp_eq_u64_e32 vcc_lo, v[12:13], v[14:15]
	v_mov_b64_e32 v[14:15], v[12:13]
	s_or_b32 s10, vcc_lo, s10
	s_delay_alu instid0(SALU_CYCLE_1)
	s_and_not1_b32 exec_lo, exec_lo, s10
	s_cbranch_execnz .LBB2_427
	s_branch .LBB2_268
.LBB2_428:
	s_clause 0x1
	s_load_b128 s[4:7], s[0:1], 0x0
	s_load_b64 s[12:13], s[0:1], 0x10
	s_cmp_lt_i32 s16, 1
	s_get_pc_i64 s[14:15]
	s_add_nc_u64 s[14:15], s[14:15], .str.5@rel64+4
	s_get_pc_i64 s[22:23]
	s_add_nc_u64 s[22:23], s[22:23], .str.3@rel64+4
	;; [unrolled: 2-line block ×3, first 2 shown]
	s_cbranch_scc1 .LBB2_1130
; %bb.429:
	s_mov_b32 s8, 0
	s_get_pc_i64 s[26:27]
	s_add_nc_u64 s[26:27], s[26:27], .str.1@rel64+4
	s_wait_loadcnt 0x0
	v_dual_mov_b32 v1, 0 :: v_dual_mov_b32 v40, v38
	s_mov_b32 s10, s8
	s_mov_b32 s11, s8
	s_add_co_i32 s19, s17, s16
	s_mov_b32 s9, s8
	s_get_pc_i64 s[28:29]
	s_add_nc_u64 s[28:29], s[28:29], .str.2@rel64+4
	s_cmp_lg_u64 s[26:27], 0
	v_mov_b64_e32 v[14:15], s[10:11]
	v_mov_b64_e32 v[2:3], 0x100000002
	;; [unrolled: 1-line block ×3, first 2 shown]
	s_get_pc_i64 s[30:31]
	s_add_nc_u64 s[30:31], s[30:31], .str.5@rel64+4
	s_cselect_b32 s33, -1, 0
	s_cmp_lg_u64 s[28:29], 0
	v_dual_mov_b32 v41, v1 :: v_dual_mov_b32 v4, 33
	v_dual_mov_b32 v8, 33 :: v_dual_mov_b32 v9, v1
	;; [unrolled: 1-line block ×3, first 2 shown]
	s_cselect_b32 s44, -1, 0
	s_cmp_lg_u64 s[30:31], 0
	s_cselect_b32 s45, -1, 0
	s_branch .LBB2_431
.LBB2_430:                              ;   in Loop: Header=BB2_431 Depth=1
	s_or_b32 exec_lo, exec_lo, s36
	s_cmp_ge_i32 s17, s19
	s_cbranch_scc1 .LBB2_1130
.LBB2_431:                              ; =>This Loop Header: Depth=1
                                        ;     Child Loop BB2_434 Depth 2
                                        ;     Child Loop BB2_442 Depth 2
	;; [unrolled: 1-line block ×9, first 2 shown]
                                        ;       Child Loop BB2_463 Depth 3
                                        ;       Child Loop BB2_470 Depth 3
	;; [unrolled: 1-line block ×11, first 2 shown]
                                        ;     Child Loop BB2_567 Depth 2
                                        ;     Child Loop BB2_575 Depth 2
	;; [unrolled: 1-line block ×13, first 2 shown]
                                        ;       Child Loop BB2_622 Depth 3
                                        ;       Child Loop BB2_629 Depth 3
                                        ;       Child Loop BB2_636 Depth 3
                                        ;       Child Loop BB2_643 Depth 3
                                        ;       Child Loop BB2_650 Depth 3
                                        ;       Child Loop BB2_657 Depth 3
                                        ;       Child Loop BB2_664 Depth 3
                                        ;       Child Loop BB2_671 Depth 3
                                        ;       Child Loop BB2_679 Depth 3
                                        ;       Child Loop BB2_688 Depth 3
                                        ;       Child Loop BB2_693 Depth 3
                                        ;     Child Loop BB2_725 Depth 2
                                        ;     Child Loop BB2_810 Depth 2
	;; [unrolled: 1-line block ×6, first 2 shown]
                                        ;       Child Loop BB2_733 Depth 3
                                        ;       Child Loop BB2_740 Depth 3
	;; [unrolled: 1-line block ×11, first 2 shown]
                                        ;     Child Loop BB2_837 Depth 2
                                        ;     Child Loop BB2_845 Depth 2
	;; [unrolled: 1-line block ×13, first 2 shown]
                                        ;       Child Loop BB2_892 Depth 3
                                        ;       Child Loop BB2_899 Depth 3
	;; [unrolled: 1-line block ×11, first 2 shown]
                                        ;     Child Loop BB2_995 Depth 2
                                        ;     Child Loop BB2_1080 Depth 2
	;; [unrolled: 1-line block ×6, first 2 shown]
                                        ;       Child Loop BB2_1003 Depth 3
                                        ;       Child Loop BB2_1010 Depth 3
	;; [unrolled: 1-line block ×11, first 2 shown]
                                        ;     Child Loop BB2_1107 Depth 2
                                        ;     Child Loop BB2_1115 Depth 2
	;; [unrolled: 1-line block ×4, first 2 shown]
	v_mov_b32_e32 v0, s17
	v_readfirstlane_b32 s2, v46
	v_mov_b64_e32 v[6:7], 0
	s_wait_kmcnt 0x0
	s_clause 0x1
	global_load_b32 v5, v0, s[4:5] offset:4 scale_offset
	global_load_b32 v16, v0, s[6:7] offset:4 scale_offset
	v_cmp_eq_u32_e64 s2, s2, v46
	s_wait_loadcnt 0x1
	v_readfirstlane_b32 s47, v5
	s_wait_loadcnt 0x0
	v_readfirstlane_b32 s46, v16
	s_wait_xcnt 0x0
	s_and_saveexec_b32 s3, s2
	s_cbranch_execz .LBB2_437
; %bb.432:                              ;   in Loop: Header=BB2_431 Depth=1
	global_load_b64 v[18:19], v1, s[20:21] offset:24 scope:SCOPE_SYS
	s_wait_loadcnt 0x0
	global_inv scope:SCOPE_SYS
	s_clause 0x1
	global_load_b64 v[6:7], v1, s[20:21] offset:40
	global_load_b64 v[16:17], v1, s[20:21]
	s_mov_b32 s34, exec_lo
	s_wait_loadcnt 0x1
	v_and_b32_e32 v6, v6, v18
	v_and_b32_e32 v7, v7, v19
	s_delay_alu instid0(VALU_DEP_1) | instskip(SKIP_1) | instid1(VALU_DEP_1)
	v_mul_u64_e32 v[6:7], 24, v[6:7]
	s_wait_loadcnt 0x0
	v_add_nc_u64_e32 v[6:7], v[16:17], v[6:7]
	global_load_b64 v[16:17], v[6:7], off scope:SCOPE_SYS
	s_wait_xcnt 0x0
	s_wait_loadcnt 0x0
	global_atomic_cmpswap_b64 v[6:7], v1, v[16:19], s[20:21] offset:24 th:TH_ATOMIC_RETURN scope:SCOPE_SYS
	s_wait_loadcnt 0x0
	global_inv scope:SCOPE_SYS
	s_wait_xcnt 0x0
	v_cmpx_ne_u64_e64 v[6:7], v[18:19]
	s_cbranch_execz .LBB2_436
; %bb.433:                              ;   in Loop: Header=BB2_431 Depth=1
	s_mov_b32 s35, 0
.LBB2_434:                              ;   Parent Loop BB2_431 Depth=1
                                        ; =>  This Inner Loop Header: Depth=2
	s_sleep 1
	s_clause 0x1
	global_load_b64 v[16:17], v1, s[20:21] offset:40
	global_load_b64 v[20:21], v1, s[20:21]
	v_mov_b64_e32 v[18:19], v[6:7]
	s_wait_loadcnt 0x1
	s_delay_alu instid0(VALU_DEP_1) | instskip(SKIP_1) | instid1(VALU_DEP_1)
	v_and_b32_e32 v0, v16, v18
	s_wait_loadcnt 0x0
	v_mad_nc_u64_u32 v[6:7], v0, 24, v[20:21]
	s_delay_alu instid0(VALU_DEP_3) | instskip(NEXT) | instid1(VALU_DEP_1)
	v_and_b32_e32 v0, v17, v19
	v_mad_u32 v7, v0, 24, v7
	global_load_b64 v[16:17], v[6:7], off scope:SCOPE_SYS
	s_wait_xcnt 0x0
	s_wait_loadcnt 0x0
	global_atomic_cmpswap_b64 v[6:7], v1, v[16:19], s[20:21] offset:24 th:TH_ATOMIC_RETURN scope:SCOPE_SYS
	s_wait_loadcnt 0x0
	global_inv scope:SCOPE_SYS
	v_cmp_eq_u64_e32 vcc_lo, v[6:7], v[18:19]
	s_or_b32 s35, vcc_lo, s35
	s_wait_xcnt 0x0
	s_and_not1_b32 exec_lo, exec_lo, s35
	s_cbranch_execnz .LBB2_434
; %bb.435:                              ;   in Loop: Header=BB2_431 Depth=1
	s_or_b32 exec_lo, exec_lo, s35
.LBB2_436:                              ;   in Loop: Header=BB2_431 Depth=1
	s_delay_alu instid0(SALU_CYCLE_1)
	s_or_b32 exec_lo, exec_lo, s34
.LBB2_437:                              ;   in Loop: Header=BB2_431 Depth=1
	s_delay_alu instid0(SALU_CYCLE_1)
	s_or_b32 exec_lo, exec_lo, s3
	s_clause 0x1
	global_load_b64 v[20:21], v1, s[20:21] offset:40
	global_load_b128 v[16:19], v1, s[20:21]
	v_readfirstlane_b32 s34, v6
	v_readfirstlane_b32 s35, v7
	s_mov_b32 s3, exec_lo
	s_wait_loadcnt 0x1
	v_and_b32_e32 v20, s34, v20
	v_and_b32_e32 v21, s35, v21
	s_delay_alu instid0(VALU_DEP_1) | instskip(SKIP_1) | instid1(VALU_DEP_1)
	v_mul_u64_e32 v[6:7], 24, v[20:21]
	s_wait_loadcnt 0x0
	v_add_nc_u64_e32 v[6:7], v[16:17], v[6:7]
	s_wait_xcnt 0x0
	s_and_saveexec_b32 s36, s2
	s_cbranch_execz .LBB2_439
; %bb.438:                              ;   in Loop: Header=BB2_431 Depth=1
	v_mov_b32_e32 v0, s3
	global_store_b128 v[6:7], v[0:3], off offset:8
.LBB2_439:                              ;   in Loop: Header=BB2_431 Depth=1
	s_wait_xcnt 0x0
	s_or_b32 exec_lo, exec_lo, s36
	v_lshlrev_b64_e32 v[20:21], 12, v[20:21]
	s_delay_alu instid0(VALU_DEP_1) | instskip(NEXT) | instid1(VALU_DEP_1)
	v_add_nc_u64_e32 v[20:21], v[18:19], v[20:21]
	v_readfirstlane_b32 s36, v20
	s_delay_alu instid0(VALU_DEP_2)
	v_readfirstlane_b32 s37, v21
	s_clause 0x3
	global_store_b128 v38, v[8:11], s[36:37]
	global_store_b128 v38, v[12:15], s[36:37] offset:16
	global_store_b128 v38, v[12:15], s[36:37] offset:32
	;; [unrolled: 1-line block ×3, first 2 shown]
	s_wait_xcnt 0x0
	s_and_saveexec_b32 s3, s2
	s_cbranch_execz .LBB2_447
; %bb.440:                              ;   in Loop: Header=BB2_431 Depth=1
	s_clause 0x1
	global_load_b64 v[26:27], v1, s[20:21] offset:32 scope:SCOPE_SYS
	global_load_b64 v[18:19], v1, s[20:21] offset:40
	s_mov_b32 s36, exec_lo
	v_dual_mov_b32 v24, s34 :: v_dual_mov_b32 v25, s35
	s_wait_loadcnt 0x0
	v_and_b32_e32 v19, s35, v19
	v_and_b32_e32 v18, s34, v18
	s_delay_alu instid0(VALU_DEP_1) | instskip(NEXT) | instid1(VALU_DEP_1)
	v_mul_u64_e32 v[18:19], 24, v[18:19]
	v_add_nc_u64_e32 v[22:23], v[16:17], v[18:19]
	global_store_b64 v[22:23], v[26:27], off
	global_wb scope:SCOPE_SYS
	s_wait_storecnt 0x0
	s_wait_xcnt 0x0
	global_atomic_cmpswap_b64 v[18:19], v1, v[24:27], s[20:21] offset:32 th:TH_ATOMIC_RETURN scope:SCOPE_SYS
	s_wait_loadcnt 0x0
	v_cmpx_ne_u64_e64 v[18:19], v[26:27]
	s_cbranch_execz .LBB2_443
; %bb.441:                              ;   in Loop: Header=BB2_431 Depth=1
	s_mov_b32 s37, 0
.LBB2_442:                              ;   Parent Loop BB2_431 Depth=1
                                        ; =>  This Inner Loop Header: Depth=2
	v_dual_mov_b32 v16, s34 :: v_dual_mov_b32 v17, s35
	s_sleep 1
	global_store_b64 v[22:23], v[18:19], off
	global_wb scope:SCOPE_SYS
	s_wait_storecnt 0x0
	s_wait_xcnt 0x0
	global_atomic_cmpswap_b64 v[16:17], v1, v[16:19], s[20:21] offset:32 th:TH_ATOMIC_RETURN scope:SCOPE_SYS
	s_wait_loadcnt 0x0
	v_cmp_eq_u64_e32 vcc_lo, v[16:17], v[18:19]
	v_mov_b64_e32 v[18:19], v[16:17]
	s_or_b32 s37, vcc_lo, s37
	s_delay_alu instid0(SALU_CYCLE_1)
	s_and_not1_b32 exec_lo, exec_lo, s37
	s_cbranch_execnz .LBB2_442
.LBB2_443:                              ;   in Loop: Header=BB2_431 Depth=1
	s_or_b32 exec_lo, exec_lo, s36
	global_load_b64 v[16:17], v1, s[20:21] offset:16
	s_mov_b32 s37, exec_lo
	s_mov_b32 s36, exec_lo
	v_mbcnt_lo_u32_b32 v0, s37, 0
	s_wait_xcnt 0x0
	s_delay_alu instid0(VALU_DEP_1)
	v_cmpx_eq_u32_e32 0, v0
	s_cbranch_execz .LBB2_445
; %bb.444:                              ;   in Loop: Header=BB2_431 Depth=1
	s_bcnt1_i32_b32 s37, s37
	s_delay_alu instid0(SALU_CYCLE_1)
	v_mov_b32_e32 v0, s37
	global_wb scope:SCOPE_SYS
	s_wait_loadcnt 0x0
	s_wait_storecnt 0x0
	global_atomic_add_u64 v[16:17], v[0:1], off offset:8 scope:SCOPE_SYS
.LBB2_445:                              ;   in Loop: Header=BB2_431 Depth=1
	s_wait_xcnt 0x0
	s_or_b32 exec_lo, exec_lo, s36
	s_wait_loadcnt 0x0
	global_load_b64 v[18:19], v[16:17], off offset:16
	s_wait_loadcnt 0x0
	v_cmp_eq_u64_e32 vcc_lo, 0, v[18:19]
	s_cbranch_vccnz .LBB2_447
; %bb.446:                              ;   in Loop: Header=BB2_431 Depth=1
	global_load_b32 v0, v[16:17], off offset:24
	s_wait_loadcnt 0x0
	v_readfirstlane_b32 s36, v0
	global_wb scope:SCOPE_SYS
	s_wait_storecnt 0x0
	s_wait_xcnt 0x0
	global_store_b64 v[18:19], v[0:1], off scope:SCOPE_SYS
	s_and_b32 m0, s36, 0xffffff
	s_sendmsg sendmsg(MSG_INTERRUPT)
.LBB2_447:                              ;   in Loop: Header=BB2_431 Depth=1
	s_wait_xcnt 0x0
	s_or_b32 exec_lo, exec_lo, s3
	v_add_nc_u64_e32 v[16:17], v[20:21], v[40:41]
	s_branch .LBB2_451
.LBB2_448:                              ;   in Loop: Header=BB2_451 Depth=2
	s_wait_xcnt 0x0
	s_or_b32 exec_lo, exec_lo, s3
	s_delay_alu instid0(VALU_DEP_1)
	v_readfirstlane_b32 s3, v0
	s_cmp_eq_u32 s3, 0
	s_cbranch_scc1 .LBB2_450
; %bb.449:                              ;   in Loop: Header=BB2_451 Depth=2
	s_sleep 1
	s_cbranch_execnz .LBB2_451
	s_branch .LBB2_453
.LBB2_450:                              ;   in Loop: Header=BB2_431 Depth=1
	s_branch .LBB2_453
.LBB2_451:                              ;   Parent Loop BB2_431 Depth=1
                                        ; =>  This Inner Loop Header: Depth=2
	v_mov_b32_e32 v0, 1
	s_and_saveexec_b32 s3, s2
	s_cbranch_execz .LBB2_448
; %bb.452:                              ;   in Loop: Header=BB2_451 Depth=2
	global_load_b32 v0, v[6:7], off offset:20 scope:SCOPE_SYS
	s_wait_loadcnt 0x0
	global_inv scope:SCOPE_SYS
	v_and_b32_e32 v0, 1, v0
	s_branch .LBB2_448
.LBB2_453:                              ;   in Loop: Header=BB2_431 Depth=1
	global_load_b64 v[16:17], v[16:17], off
	s_wait_xcnt 0x0
	s_and_saveexec_b32 s36, s2
	s_cbranch_execz .LBB2_457
; %bb.454:                              ;   in Loop: Header=BB2_431 Depth=1
	s_clause 0x2
	global_load_b64 v[6:7], v1, s[20:21] offset:40
	global_load_b64 v[22:23], v1, s[20:21] offset:24 scope:SCOPE_SYS
	global_load_b64 v[18:19], v1, s[20:21]
	s_wait_loadcnt 0x2
	v_readfirstlane_b32 s38, v6
	v_readfirstlane_b32 s39, v7
	s_add_nc_u64 s[2:3], s[38:39], 1
	s_delay_alu instid0(SALU_CYCLE_1) | instskip(NEXT) | instid1(SALU_CYCLE_1)
	s_add_nc_u64 s[34:35], s[2:3], s[34:35]
	s_cmp_eq_u64 s[34:35], 0
	s_cselect_b32 s3, s3, s35
	s_cselect_b32 s2, s2, s34
	s_delay_alu instid0(SALU_CYCLE_1) | instskip(SKIP_1) | instid1(SALU_CYCLE_1)
	v_dual_mov_b32 v21, s3 :: v_dual_mov_b32 v20, s2
	s_and_b64 s[34:35], s[2:3], s[38:39]
	s_mul_u64 s[34:35], s[34:35], 24
	s_wait_loadcnt 0x0
	v_add_nc_u64_e32 v[6:7], s[34:35], v[18:19]
	global_store_b64 v[6:7], v[22:23], off
	global_wb scope:SCOPE_SYS
	s_wait_storecnt 0x0
	s_wait_xcnt 0x0
	global_atomic_cmpswap_b64 v[20:21], v1, v[20:23], s[20:21] offset:24 th:TH_ATOMIC_RETURN scope:SCOPE_SYS
	s_wait_loadcnt 0x0
	v_cmp_ne_u64_e32 vcc_lo, v[20:21], v[22:23]
	s_and_b32 exec_lo, exec_lo, vcc_lo
	s_cbranch_execz .LBB2_457
; %bb.455:                              ;   in Loop: Header=BB2_431 Depth=1
	s_mov_b32 s34, 0
.LBB2_456:                              ;   Parent Loop BB2_431 Depth=1
                                        ; =>  This Inner Loop Header: Depth=2
	v_dual_mov_b32 v18, s2 :: v_dual_mov_b32 v19, s3
	s_sleep 1
	global_store_b64 v[6:7], v[20:21], off
	global_wb scope:SCOPE_SYS
	s_wait_storecnt 0x0
	s_wait_xcnt 0x0
	global_atomic_cmpswap_b64 v[18:19], v1, v[18:21], s[20:21] offset:24 th:TH_ATOMIC_RETURN scope:SCOPE_SYS
	s_wait_loadcnt 0x0
	v_cmp_eq_u64_e32 vcc_lo, v[18:19], v[20:21]
	v_mov_b64_e32 v[20:21], v[18:19]
	s_or_b32 s34, vcc_lo, s34
	s_delay_alu instid0(SALU_CYCLE_1)
	s_and_not1_b32 exec_lo, exec_lo, s34
	s_cbranch_execnz .LBB2_456
.LBB2_457:                              ;   in Loop: Header=BB2_431 Depth=1
	s_or_b32 exec_lo, exec_lo, s36
	s_delay_alu instid0(SALU_CYCLE_1)
	s_and_b32 vcc_lo, exec_lo, s33
	s_cbranch_vccz .LBB2_536
; %bb.458:                              ;   in Loop: Header=BB2_431 Depth=1
	s_wait_loadcnt 0x0
	v_dual_mov_b32 v19, v17 :: v_dual_bitop2_b32 v6, 2, v16 bitop3:0x40
	v_and_b32_e32 v18, -3, v16
	s_mov_b64 s[34:35], 4
	s_mov_b64 s[36:37], s[26:27]
	s_branch .LBB2_460
.LBB2_459:                              ;   in Loop: Header=BB2_460 Depth=2
	s_or_b32 exec_lo, exec_lo, s42
	s_sub_nc_u64 s[34:35], s[34:35], s[38:39]
	s_add_nc_u64 s[36:37], s[36:37], s[38:39]
	s_cmp_lg_u64 s[34:35], 0
	s_cbranch_scc0 .LBB2_535
.LBB2_460:                              ;   Parent Loop BB2_431 Depth=1
                                        ; =>  This Loop Header: Depth=2
                                        ;       Child Loop BB2_463 Depth 3
                                        ;       Child Loop BB2_470 Depth 3
	;; [unrolled: 1-line block ×11, first 2 shown]
	v_min_u64 v[20:21], s[34:35], 56
	v_cmp_gt_u64_e64 s2, s[34:35], 7
	s_and_b32 vcc_lo, exec_lo, s2
	v_readfirstlane_b32 s38, v20
	v_readfirstlane_b32 s39, v21
	s_cbranch_vccnz .LBB2_465
; %bb.461:                              ;   in Loop: Header=BB2_460 Depth=2
	v_mov_b64_e32 v[20:21], 0
	s_cmp_eq_u64 s[34:35], 0
	s_cbranch_scc1 .LBB2_464
; %bb.462:                              ;   in Loop: Header=BB2_460 Depth=2
	s_mov_b64 s[2:3], 0
	s_mov_b64 s[40:41], 0
.LBB2_463:                              ;   Parent Loop BB2_431 Depth=1
                                        ;     Parent Loop BB2_460 Depth=2
                                        ; =>    This Inner Loop Header: Depth=3
	s_wait_xcnt 0x0
	s_add_nc_u64 s[42:43], s[36:37], s[40:41]
	s_add_nc_u64 s[40:41], s[40:41], 1
	global_load_u8 v0, v1, s[42:43]
	s_cmp_lg_u32 s38, s40
	s_wait_loadcnt 0x0
	v_and_b32_e32 v0, 0xffff, v0
	s_delay_alu instid0(VALU_DEP_1) | instskip(SKIP_1) | instid1(VALU_DEP_1)
	v_lshlrev_b64_e32 v[22:23], s2, v[0:1]
	s_add_nc_u64 s[2:3], s[2:3], 8
	v_or_b32_e32 v20, v22, v20
	s_delay_alu instid0(VALU_DEP_2)
	v_or_b32_e32 v21, v23, v21
	s_cbranch_scc1 .LBB2_463
.LBB2_464:                              ;   in Loop: Header=BB2_460 Depth=2
	s_mov_b64 s[2:3], s[36:37]
	s_mov_b32 s48, 0
	s_cbranch_execz .LBB2_466
	s_branch .LBB2_467
.LBB2_465:                              ;   in Loop: Header=BB2_460 Depth=2
	s_add_nc_u64 s[2:3], s[36:37], 8
	s_mov_b32 s48, 0
.LBB2_466:                              ;   in Loop: Header=BB2_460 Depth=2
	global_load_b64 v[20:21], v1, s[36:37]
	s_add_co_i32 s48, s38, -8
.LBB2_467:                              ;   in Loop: Header=BB2_460 Depth=2
	s_delay_alu instid0(SALU_CYCLE_1)
	s_cmp_gt_u32 s48, 7
	s_cbranch_scc1 .LBB2_472
; %bb.468:                              ;   in Loop: Header=BB2_460 Depth=2
	v_mov_b64_e32 v[22:23], 0
	s_cmp_eq_u32 s48, 0
	s_cbranch_scc1 .LBB2_471
; %bb.469:                              ;   in Loop: Header=BB2_460 Depth=2
	s_mov_b64 s[40:41], 0
	s_wait_xcnt 0x0
	s_mov_b64 s[42:43], 0
.LBB2_470:                              ;   Parent Loop BB2_431 Depth=1
                                        ;     Parent Loop BB2_460 Depth=2
                                        ; =>    This Inner Loop Header: Depth=3
	s_wait_xcnt 0x0
	s_add_nc_u64 s[50:51], s[2:3], s[42:43]
	s_add_nc_u64 s[42:43], s[42:43], 1
	global_load_u8 v0, v1, s[50:51]
	s_cmp_lg_u32 s48, s42
	s_wait_loadcnt 0x0
	v_and_b32_e32 v0, 0xffff, v0
	s_delay_alu instid0(VALU_DEP_1) | instskip(SKIP_1) | instid1(VALU_DEP_1)
	v_lshlrev_b64_e32 v[24:25], s40, v[0:1]
	s_add_nc_u64 s[40:41], s[40:41], 8
	v_or_b32_e32 v22, v24, v22
	s_delay_alu instid0(VALU_DEP_2)
	v_or_b32_e32 v23, v25, v23
	s_cbranch_scc1 .LBB2_470
.LBB2_471:                              ;   in Loop: Header=BB2_460 Depth=2
	s_wait_xcnt 0x0
	s_mov_b64 s[40:41], s[2:3]
	s_mov_b32 s49, 0
	s_cbranch_execz .LBB2_473
	s_branch .LBB2_474
.LBB2_472:                              ;   in Loop: Header=BB2_460 Depth=2
	s_add_nc_u64 s[40:41], s[2:3], 8
	s_wait_xcnt 0x0
                                        ; implicit-def: $vgpr22_vgpr23
	s_mov_b32 s49, 0
.LBB2_473:                              ;   in Loop: Header=BB2_460 Depth=2
	global_load_b64 v[22:23], v1, s[2:3]
	s_add_co_i32 s49, s48, -8
.LBB2_474:                              ;   in Loop: Header=BB2_460 Depth=2
	s_delay_alu instid0(SALU_CYCLE_1)
	s_cmp_gt_u32 s49, 7
	s_cbranch_scc1 .LBB2_479
; %bb.475:                              ;   in Loop: Header=BB2_460 Depth=2
	v_mov_b64_e32 v[24:25], 0
	s_cmp_eq_u32 s49, 0
	s_cbranch_scc1 .LBB2_478
; %bb.476:                              ;   in Loop: Header=BB2_460 Depth=2
	s_wait_xcnt 0x0
	s_mov_b64 s[2:3], 0
	s_mov_b64 s[42:43], 0
.LBB2_477:                              ;   Parent Loop BB2_431 Depth=1
                                        ;     Parent Loop BB2_460 Depth=2
                                        ; =>    This Inner Loop Header: Depth=3
	s_wait_xcnt 0x0
	s_add_nc_u64 s[50:51], s[40:41], s[42:43]
	s_add_nc_u64 s[42:43], s[42:43], 1
	global_load_u8 v0, v1, s[50:51]
	s_cmp_lg_u32 s49, s42
	s_wait_loadcnt 0x0
	v_and_b32_e32 v0, 0xffff, v0
	s_delay_alu instid0(VALU_DEP_1) | instskip(SKIP_1) | instid1(VALU_DEP_1)
	v_lshlrev_b64_e32 v[26:27], s2, v[0:1]
	s_add_nc_u64 s[2:3], s[2:3], 8
	v_or_b32_e32 v24, v26, v24
	s_delay_alu instid0(VALU_DEP_2)
	v_or_b32_e32 v25, v27, v25
	s_cbranch_scc1 .LBB2_477
.LBB2_478:                              ;   in Loop: Header=BB2_460 Depth=2
	s_wait_xcnt 0x0
	s_mov_b64 s[2:3], s[40:41]
	s_mov_b32 s48, 0
	s_cbranch_execz .LBB2_480
	s_branch .LBB2_481
.LBB2_479:                              ;   in Loop: Header=BB2_460 Depth=2
	s_wait_xcnt 0x0
	s_add_nc_u64 s[2:3], s[40:41], 8
	s_mov_b32 s48, 0
.LBB2_480:                              ;   in Loop: Header=BB2_460 Depth=2
	global_load_b64 v[24:25], v1, s[40:41]
	s_add_co_i32 s48, s49, -8
.LBB2_481:                              ;   in Loop: Header=BB2_460 Depth=2
	s_delay_alu instid0(SALU_CYCLE_1)
	s_cmp_gt_u32 s48, 7
	s_cbranch_scc1 .LBB2_486
; %bb.482:                              ;   in Loop: Header=BB2_460 Depth=2
	v_mov_b64_e32 v[26:27], 0
	s_cmp_eq_u32 s48, 0
	s_cbranch_scc1 .LBB2_485
; %bb.483:                              ;   in Loop: Header=BB2_460 Depth=2
	s_wait_xcnt 0x0
	s_mov_b64 s[40:41], 0
	s_mov_b64 s[42:43], 0
.LBB2_484:                              ;   Parent Loop BB2_431 Depth=1
                                        ;     Parent Loop BB2_460 Depth=2
                                        ; =>    This Inner Loop Header: Depth=3
	s_wait_xcnt 0x0
	s_add_nc_u64 s[50:51], s[2:3], s[42:43]
	s_add_nc_u64 s[42:43], s[42:43], 1
	global_load_u8 v0, v1, s[50:51]
	s_cmp_lg_u32 s48, s42
	s_wait_loadcnt 0x0
	v_and_b32_e32 v0, 0xffff, v0
	s_delay_alu instid0(VALU_DEP_1) | instskip(SKIP_1) | instid1(VALU_DEP_1)
	v_lshlrev_b64_e32 v[28:29], s40, v[0:1]
	s_add_nc_u64 s[40:41], s[40:41], 8
	v_or_b32_e32 v26, v28, v26
	s_delay_alu instid0(VALU_DEP_2)
	v_or_b32_e32 v27, v29, v27
	s_cbranch_scc1 .LBB2_484
.LBB2_485:                              ;   in Loop: Header=BB2_460 Depth=2
	s_wait_xcnt 0x0
	s_mov_b64 s[40:41], s[2:3]
	s_mov_b32 s49, 0
	s_cbranch_execz .LBB2_487
	s_branch .LBB2_488
.LBB2_486:                              ;   in Loop: Header=BB2_460 Depth=2
	s_wait_xcnt 0x0
	s_add_nc_u64 s[40:41], s[2:3], 8
                                        ; implicit-def: $vgpr26_vgpr27
	s_mov_b32 s49, 0
.LBB2_487:                              ;   in Loop: Header=BB2_460 Depth=2
	global_load_b64 v[26:27], v1, s[2:3]
	s_add_co_i32 s49, s48, -8
.LBB2_488:                              ;   in Loop: Header=BB2_460 Depth=2
	s_delay_alu instid0(SALU_CYCLE_1)
	s_cmp_gt_u32 s49, 7
	s_cbranch_scc1 .LBB2_493
; %bb.489:                              ;   in Loop: Header=BB2_460 Depth=2
	v_mov_b64_e32 v[28:29], 0
	s_cmp_eq_u32 s49, 0
	s_cbranch_scc1 .LBB2_492
; %bb.490:                              ;   in Loop: Header=BB2_460 Depth=2
	s_wait_xcnt 0x0
	s_mov_b64 s[2:3], 0
	s_mov_b64 s[42:43], 0
.LBB2_491:                              ;   Parent Loop BB2_431 Depth=1
                                        ;     Parent Loop BB2_460 Depth=2
                                        ; =>    This Inner Loop Header: Depth=3
	s_wait_xcnt 0x0
	s_add_nc_u64 s[50:51], s[40:41], s[42:43]
	s_add_nc_u64 s[42:43], s[42:43], 1
	global_load_u8 v0, v1, s[50:51]
	s_cmp_lg_u32 s49, s42
	s_wait_loadcnt 0x0
	v_and_b32_e32 v0, 0xffff, v0
	s_delay_alu instid0(VALU_DEP_1) | instskip(SKIP_1) | instid1(VALU_DEP_1)
	v_lshlrev_b64_e32 v[30:31], s2, v[0:1]
	s_add_nc_u64 s[2:3], s[2:3], 8
	v_or_b32_e32 v28, v30, v28
	s_delay_alu instid0(VALU_DEP_2)
	v_or_b32_e32 v29, v31, v29
	s_cbranch_scc1 .LBB2_491
.LBB2_492:                              ;   in Loop: Header=BB2_460 Depth=2
	s_wait_xcnt 0x0
	s_mov_b64 s[2:3], s[40:41]
	s_mov_b32 s48, 0
	s_cbranch_execz .LBB2_494
	s_branch .LBB2_495
.LBB2_493:                              ;   in Loop: Header=BB2_460 Depth=2
	s_wait_xcnt 0x0
	s_add_nc_u64 s[2:3], s[40:41], 8
	s_mov_b32 s48, 0
.LBB2_494:                              ;   in Loop: Header=BB2_460 Depth=2
	global_load_b64 v[28:29], v1, s[40:41]
	s_add_co_i32 s48, s49, -8
.LBB2_495:                              ;   in Loop: Header=BB2_460 Depth=2
	s_delay_alu instid0(SALU_CYCLE_1)
	s_cmp_gt_u32 s48, 7
	s_cbranch_scc1 .LBB2_500
; %bb.496:                              ;   in Loop: Header=BB2_460 Depth=2
	v_mov_b64_e32 v[30:31], 0
	s_cmp_eq_u32 s48, 0
	s_cbranch_scc1 .LBB2_499
; %bb.497:                              ;   in Loop: Header=BB2_460 Depth=2
	s_wait_xcnt 0x0
	s_mov_b64 s[40:41], 0
	s_mov_b64 s[42:43], 0
.LBB2_498:                              ;   Parent Loop BB2_431 Depth=1
                                        ;     Parent Loop BB2_460 Depth=2
                                        ; =>    This Inner Loop Header: Depth=3
	s_wait_xcnt 0x0
	s_add_nc_u64 s[50:51], s[2:3], s[42:43]
	s_add_nc_u64 s[42:43], s[42:43], 1
	global_load_u8 v0, v1, s[50:51]
	s_cmp_lg_u32 s48, s42
	s_wait_loadcnt 0x0
	v_and_b32_e32 v0, 0xffff, v0
	s_delay_alu instid0(VALU_DEP_1) | instskip(SKIP_1) | instid1(VALU_DEP_1)
	v_lshlrev_b64_e32 v[32:33], s40, v[0:1]
	s_add_nc_u64 s[40:41], s[40:41], 8
	v_or_b32_e32 v30, v32, v30
	s_delay_alu instid0(VALU_DEP_2)
	v_or_b32_e32 v31, v33, v31
	s_cbranch_scc1 .LBB2_498
.LBB2_499:                              ;   in Loop: Header=BB2_460 Depth=2
	s_wait_xcnt 0x0
	s_mov_b64 s[40:41], s[2:3]
	s_mov_b32 s49, 0
	s_cbranch_execz .LBB2_501
	s_branch .LBB2_502
.LBB2_500:                              ;   in Loop: Header=BB2_460 Depth=2
	s_wait_xcnt 0x0
	s_add_nc_u64 s[40:41], s[2:3], 8
                                        ; implicit-def: $vgpr30_vgpr31
	s_mov_b32 s49, 0
.LBB2_501:                              ;   in Loop: Header=BB2_460 Depth=2
	global_load_b64 v[30:31], v1, s[2:3]
	s_add_co_i32 s49, s48, -8
.LBB2_502:                              ;   in Loop: Header=BB2_460 Depth=2
	s_delay_alu instid0(SALU_CYCLE_1)
	s_cmp_gt_u32 s49, 7
	s_cbranch_scc1 .LBB2_507
; %bb.503:                              ;   in Loop: Header=BB2_460 Depth=2
	v_mov_b64_e32 v[32:33], 0
	s_cmp_eq_u32 s49, 0
	s_cbranch_scc1 .LBB2_506
; %bb.504:                              ;   in Loop: Header=BB2_460 Depth=2
	s_wait_xcnt 0x0
	s_mov_b64 s[2:3], 0
	s_mov_b64 s[42:43], s[40:41]
.LBB2_505:                              ;   Parent Loop BB2_431 Depth=1
                                        ;     Parent Loop BB2_460 Depth=2
                                        ; =>    This Inner Loop Header: Depth=3
	global_load_u8 v0, v1, s[42:43]
	s_add_co_i32 s49, s49, -1
	s_wait_xcnt 0x0
	s_add_nc_u64 s[42:43], s[42:43], 1
	s_cmp_lg_u32 s49, 0
	s_wait_loadcnt 0x0
	v_and_b32_e32 v0, 0xffff, v0
	s_delay_alu instid0(VALU_DEP_1) | instskip(SKIP_1) | instid1(VALU_DEP_1)
	v_lshlrev_b64_e32 v[34:35], s2, v[0:1]
	s_add_nc_u64 s[2:3], s[2:3], 8
	v_or_b32_e32 v32, v34, v32
	s_delay_alu instid0(VALU_DEP_2)
	v_or_b32_e32 v33, v35, v33
	s_cbranch_scc1 .LBB2_505
.LBB2_506:                              ;   in Loop: Header=BB2_460 Depth=2
	s_wait_xcnt 0x0
	s_cbranch_execz .LBB2_508
	s_branch .LBB2_509
.LBB2_507:                              ;   in Loop: Header=BB2_460 Depth=2
	s_wait_xcnt 0x0
.LBB2_508:                              ;   in Loop: Header=BB2_460 Depth=2
	global_load_b64 v[32:33], v1, s[40:41]
.LBB2_509:                              ;   in Loop: Header=BB2_460 Depth=2
	v_readfirstlane_b32 s2, v46
	v_mov_b64_e32 v[42:43], 0
	s_delay_alu instid0(VALU_DEP_2)
	v_cmp_eq_u32_e64 s2, s2, v46
	s_wait_xcnt 0x0
	s_and_saveexec_b32 s3, s2
	s_cbranch_execz .LBB2_515
; %bb.510:                              ;   in Loop: Header=BB2_460 Depth=2
	global_load_b64 v[36:37], v1, s[20:21] offset:24 scope:SCOPE_SYS
	s_wait_loadcnt 0x0
	global_inv scope:SCOPE_SYS
	s_clause 0x1
	global_load_b64 v[34:35], v1, s[20:21] offset:40
	global_load_b64 v[42:43], v1, s[20:21]
	s_mov_b32 s40, exec_lo
	s_wait_loadcnt 0x1
	v_and_b32_e32 v34, v34, v36
	v_and_b32_e32 v35, v35, v37
	s_delay_alu instid0(VALU_DEP_1) | instskip(SKIP_1) | instid1(VALU_DEP_1)
	v_mul_u64_e32 v[34:35], 24, v[34:35]
	s_wait_loadcnt 0x0
	v_add_nc_u64_e32 v[34:35], v[42:43], v[34:35]
	global_load_b64 v[34:35], v[34:35], off scope:SCOPE_SYS
	s_wait_xcnt 0x0
	s_wait_loadcnt 0x0
	global_atomic_cmpswap_b64 v[42:43], v1, v[34:37], s[20:21] offset:24 th:TH_ATOMIC_RETURN scope:SCOPE_SYS
	s_wait_loadcnt 0x0
	global_inv scope:SCOPE_SYS
	s_wait_xcnt 0x0
	v_cmpx_ne_u64_e64 v[42:43], v[36:37]
	s_cbranch_execz .LBB2_514
; %bb.511:                              ;   in Loop: Header=BB2_460 Depth=2
	s_mov_b32 s41, 0
.LBB2_512:                              ;   Parent Loop BB2_431 Depth=1
                                        ;     Parent Loop BB2_460 Depth=2
                                        ; =>    This Inner Loop Header: Depth=3
	s_sleep 1
	s_clause 0x1
	global_load_b64 v[34:35], v1, s[20:21] offset:40
	global_load_b64 v[44:45], v1, s[20:21]
	v_mov_b64_e32 v[36:37], v[42:43]
	s_wait_loadcnt 0x1
	s_delay_alu instid0(VALU_DEP_1) | instskip(SKIP_1) | instid1(VALU_DEP_1)
	v_and_b32_e32 v0, v34, v36
	s_wait_loadcnt 0x0
	v_mad_nc_u64_u32 v[42:43], v0, 24, v[44:45]
	s_delay_alu instid0(VALU_DEP_3) | instskip(NEXT) | instid1(VALU_DEP_1)
	v_and_b32_e32 v0, v35, v37
	v_mad_u32 v43, v0, 24, v43
	global_load_b64 v[34:35], v[42:43], off scope:SCOPE_SYS
	s_wait_xcnt 0x0
	s_wait_loadcnt 0x0
	global_atomic_cmpswap_b64 v[42:43], v1, v[34:37], s[20:21] offset:24 th:TH_ATOMIC_RETURN scope:SCOPE_SYS
	s_wait_loadcnt 0x0
	global_inv scope:SCOPE_SYS
	v_cmp_eq_u64_e32 vcc_lo, v[42:43], v[36:37]
	s_or_b32 s41, vcc_lo, s41
	s_wait_xcnt 0x0
	s_and_not1_b32 exec_lo, exec_lo, s41
	s_cbranch_execnz .LBB2_512
; %bb.513:                              ;   in Loop: Header=BB2_460 Depth=2
	s_or_b32 exec_lo, exec_lo, s41
.LBB2_514:                              ;   in Loop: Header=BB2_460 Depth=2
	s_delay_alu instid0(SALU_CYCLE_1)
	s_or_b32 exec_lo, exec_lo, s40
.LBB2_515:                              ;   in Loop: Header=BB2_460 Depth=2
	s_delay_alu instid0(SALU_CYCLE_1)
	s_or_b32 exec_lo, exec_lo, s3
	s_clause 0x1
	global_load_b64 v[44:45], v1, s[20:21] offset:40
	global_load_b128 v[34:37], v1, s[20:21]
	v_readfirstlane_b32 s40, v42
	v_readfirstlane_b32 s41, v43
	s_mov_b32 s3, exec_lo
	s_wait_loadcnt 0x1
	v_and_b32_e32 v44, s40, v44
	v_and_b32_e32 v45, s41, v45
	s_delay_alu instid0(VALU_DEP_1) | instskip(SKIP_1) | instid1(VALU_DEP_1)
	v_mul_u64_e32 v[42:43], 24, v[44:45]
	s_wait_loadcnt 0x0
	v_add_nc_u64_e32 v[42:43], v[34:35], v[42:43]
	s_wait_xcnt 0x0
	s_and_saveexec_b32 s42, s2
	s_cbranch_execz .LBB2_517
; %bb.516:                              ;   in Loop: Header=BB2_460 Depth=2
	v_mov_b32_e32 v0, s3
	global_store_b128 v[42:43], v[0:3], off offset:8
.LBB2_517:                              ;   in Loop: Header=BB2_460 Depth=2
	s_wait_xcnt 0x0
	s_or_b32 exec_lo, exec_lo, s42
	v_cmp_lt_u64_e64 vcc_lo, s[34:35], 57
	v_lshlrev_b64_e32 v[44:45], 12, v[44:45]
	v_and_b32_e32 v5, 0xffffff1f, v18
	s_lshl_b32 s3, s38, 2
	s_delay_alu instid0(SALU_CYCLE_1) | instskip(SKIP_1) | instid1(VALU_DEP_3)
	s_add_co_i32 s3, s3, 28
	v_cndmask_b32_e32 v0, 0, v6, vcc_lo
	v_add_nc_u64_e32 v[36:37], v[36:37], v[44:45]
	s_delay_alu instid0(VALU_DEP_2) | instskip(NEXT) | instid1(VALU_DEP_2)
	v_or_b32_e32 v0, v5, v0
	v_readfirstlane_b32 s42, v36
	s_delay_alu instid0(VALU_DEP_3) | instskip(NEXT) | instid1(VALU_DEP_3)
	v_readfirstlane_b32 s43, v37
	v_and_or_b32 v18, 0x1e0, s3, v0
	s_clause 0x3
	global_store_b128 v38, v[18:21], s[42:43]
	global_store_b128 v38, v[22:25], s[42:43] offset:16
	global_store_b128 v38, v[26:29], s[42:43] offset:32
	global_store_b128 v38, v[30:33], s[42:43] offset:48
	s_wait_xcnt 0x0
	s_and_saveexec_b32 s3, s2
	s_cbranch_execz .LBB2_525
; %bb.518:                              ;   in Loop: Header=BB2_460 Depth=2
	s_clause 0x1
	global_load_b64 v[26:27], v1, s[20:21] offset:32 scope:SCOPE_SYS
	global_load_b64 v[18:19], v1, s[20:21] offset:40
	s_mov_b32 s42, exec_lo
	v_dual_mov_b32 v24, s40 :: v_dual_mov_b32 v25, s41
	s_wait_loadcnt 0x0
	v_and_b32_e32 v19, s41, v19
	v_and_b32_e32 v18, s40, v18
	s_delay_alu instid0(VALU_DEP_1) | instskip(NEXT) | instid1(VALU_DEP_1)
	v_mul_u64_e32 v[18:19], 24, v[18:19]
	v_add_nc_u64_e32 v[22:23], v[34:35], v[18:19]
	global_store_b64 v[22:23], v[26:27], off
	global_wb scope:SCOPE_SYS
	s_wait_storecnt 0x0
	s_wait_xcnt 0x0
	global_atomic_cmpswap_b64 v[20:21], v1, v[24:27], s[20:21] offset:32 th:TH_ATOMIC_RETURN scope:SCOPE_SYS
	s_wait_loadcnt 0x0
	v_cmpx_ne_u64_e64 v[20:21], v[26:27]
	s_cbranch_execz .LBB2_521
; %bb.519:                              ;   in Loop: Header=BB2_460 Depth=2
	s_mov_b32 s43, 0
.LBB2_520:                              ;   Parent Loop BB2_431 Depth=1
                                        ;     Parent Loop BB2_460 Depth=2
                                        ; =>    This Inner Loop Header: Depth=3
	v_dual_mov_b32 v18, s40 :: v_dual_mov_b32 v19, s41
	s_sleep 1
	global_store_b64 v[22:23], v[20:21], off
	global_wb scope:SCOPE_SYS
	s_wait_storecnt 0x0
	s_wait_xcnt 0x0
	global_atomic_cmpswap_b64 v[18:19], v1, v[18:21], s[20:21] offset:32 th:TH_ATOMIC_RETURN scope:SCOPE_SYS
	s_wait_loadcnt 0x0
	v_cmp_eq_u64_e32 vcc_lo, v[18:19], v[20:21]
	v_mov_b64_e32 v[20:21], v[18:19]
	s_or_b32 s43, vcc_lo, s43
	s_delay_alu instid0(SALU_CYCLE_1)
	s_and_not1_b32 exec_lo, exec_lo, s43
	s_cbranch_execnz .LBB2_520
.LBB2_521:                              ;   in Loop: Header=BB2_460 Depth=2
	s_or_b32 exec_lo, exec_lo, s42
	global_load_b64 v[18:19], v1, s[20:21] offset:16
	s_mov_b32 s43, exec_lo
	s_mov_b32 s42, exec_lo
	v_mbcnt_lo_u32_b32 v0, s43, 0
	s_wait_xcnt 0x0
	s_delay_alu instid0(VALU_DEP_1)
	v_cmpx_eq_u32_e32 0, v0
	s_cbranch_execz .LBB2_523
; %bb.522:                              ;   in Loop: Header=BB2_460 Depth=2
	s_bcnt1_i32_b32 s43, s43
	s_delay_alu instid0(SALU_CYCLE_1)
	v_mov_b32_e32 v0, s43
	global_wb scope:SCOPE_SYS
	s_wait_loadcnt 0x0
	s_wait_storecnt 0x0
	global_atomic_add_u64 v[18:19], v[0:1], off offset:8 scope:SCOPE_SYS
.LBB2_523:                              ;   in Loop: Header=BB2_460 Depth=2
	s_wait_xcnt 0x0
	s_or_b32 exec_lo, exec_lo, s42
	s_wait_loadcnt 0x0
	global_load_b64 v[20:21], v[18:19], off offset:16
	s_wait_loadcnt 0x0
	v_cmp_eq_u64_e32 vcc_lo, 0, v[20:21]
	s_cbranch_vccnz .LBB2_525
; %bb.524:                              ;   in Loop: Header=BB2_460 Depth=2
	global_load_b32 v0, v[18:19], off offset:24
	s_wait_loadcnt 0x0
	v_readfirstlane_b32 s42, v0
	global_wb scope:SCOPE_SYS
	s_wait_storecnt 0x0
	s_wait_xcnt 0x0
	global_store_b64 v[20:21], v[0:1], off scope:SCOPE_SYS
	s_and_b32 m0, s42, 0xffffff
	s_sendmsg sendmsg(MSG_INTERRUPT)
.LBB2_525:                              ;   in Loop: Header=BB2_460 Depth=2
	s_wait_xcnt 0x0
	s_or_b32 exec_lo, exec_lo, s3
	v_mov_b32_e32 v39, v1
	s_delay_alu instid0(VALU_DEP_1)
	v_add_nc_u64_e32 v[18:19], v[36:37], v[38:39]
	s_branch .LBB2_529
.LBB2_526:                              ;   in Loop: Header=BB2_529 Depth=3
	s_wait_xcnt 0x0
	s_or_b32 exec_lo, exec_lo, s3
	s_delay_alu instid0(VALU_DEP_1)
	v_readfirstlane_b32 s3, v0
	s_cmp_eq_u32 s3, 0
	s_cbranch_scc1 .LBB2_528
; %bb.527:                              ;   in Loop: Header=BB2_529 Depth=3
	s_sleep 1
	s_cbranch_execnz .LBB2_529
	s_branch .LBB2_531
.LBB2_528:                              ;   in Loop: Header=BB2_460 Depth=2
	s_branch .LBB2_531
.LBB2_529:                              ;   Parent Loop BB2_431 Depth=1
                                        ;     Parent Loop BB2_460 Depth=2
                                        ; =>    This Inner Loop Header: Depth=3
	v_mov_b32_e32 v0, 1
	s_and_saveexec_b32 s3, s2
	s_cbranch_execz .LBB2_526
; %bb.530:                              ;   in Loop: Header=BB2_529 Depth=3
	global_load_b32 v0, v[42:43], off offset:20 scope:SCOPE_SYS
	s_wait_loadcnt 0x0
	global_inv scope:SCOPE_SYS
	v_and_b32_e32 v0, 1, v0
	s_branch .LBB2_526
.LBB2_531:                              ;   in Loop: Header=BB2_460 Depth=2
	global_load_b64 v[18:19], v[18:19], off
	s_wait_xcnt 0x0
	s_and_saveexec_b32 s42, s2
	s_cbranch_execz .LBB2_459
; %bb.532:                              ;   in Loop: Header=BB2_460 Depth=2
	s_clause 0x2
	global_load_b64 v[20:21], v1, s[20:21] offset:40
	global_load_b64 v[28:29], v1, s[20:21] offset:24 scope:SCOPE_SYS
	global_load_b64 v[22:23], v1, s[20:21]
	s_wait_loadcnt 0x2
	v_readfirstlane_b32 s48, v20
	v_readfirstlane_b32 s49, v21
	s_add_nc_u64 s[2:3], s[48:49], 1
	s_delay_alu instid0(SALU_CYCLE_1) | instskip(NEXT) | instid1(SALU_CYCLE_1)
	s_add_nc_u64 s[40:41], s[2:3], s[40:41]
	s_cmp_eq_u64 s[40:41], 0
	s_cselect_b32 s3, s3, s41
	s_cselect_b32 s2, s2, s40
	s_delay_alu instid0(SALU_CYCLE_1) | instskip(SKIP_1) | instid1(SALU_CYCLE_1)
	v_dual_mov_b32 v27, s3 :: v_dual_mov_b32 v26, s2
	s_and_b64 s[40:41], s[2:3], s[48:49]
	s_mul_u64 s[40:41], s[40:41], 24
	s_wait_loadcnt 0x0
	v_add_nc_u64_e32 v[24:25], s[40:41], v[22:23]
	global_store_b64 v[24:25], v[28:29], off
	global_wb scope:SCOPE_SYS
	s_wait_storecnt 0x0
	s_wait_xcnt 0x0
	global_atomic_cmpswap_b64 v[22:23], v1, v[26:29], s[20:21] offset:24 th:TH_ATOMIC_RETURN scope:SCOPE_SYS
	s_wait_loadcnt 0x0
	v_cmp_ne_u64_e32 vcc_lo, v[22:23], v[28:29]
	s_and_b32 exec_lo, exec_lo, vcc_lo
	s_cbranch_execz .LBB2_459
; %bb.533:                              ;   in Loop: Header=BB2_460 Depth=2
	s_mov_b32 s40, 0
.LBB2_534:                              ;   Parent Loop BB2_431 Depth=1
                                        ;     Parent Loop BB2_460 Depth=2
                                        ; =>    This Inner Loop Header: Depth=3
	v_dual_mov_b32 v20, s2 :: v_dual_mov_b32 v21, s3
	s_sleep 1
	global_store_b64 v[24:25], v[22:23], off
	global_wb scope:SCOPE_SYS
	s_wait_storecnt 0x0
	s_wait_xcnt 0x0
	global_atomic_cmpswap_b64 v[20:21], v1, v[20:23], s[20:21] offset:24 th:TH_ATOMIC_RETURN scope:SCOPE_SYS
	s_wait_loadcnt 0x0
	v_cmp_eq_u64_e32 vcc_lo, v[20:21], v[22:23]
	v_mov_b64_e32 v[22:23], v[20:21]
	s_or_b32 s40, vcc_lo, s40
	s_delay_alu instid0(SALU_CYCLE_1)
	s_and_not1_b32 exec_lo, exec_lo, s40
	s_cbranch_execnz .LBB2_534
	s_branch .LBB2_459
.LBB2_535:                              ;   in Loop: Header=BB2_431 Depth=1
	s_branch .LBB2_564
.LBB2_536:                              ;   in Loop: Header=BB2_431 Depth=1
                                        ; implicit-def: $vgpr18_vgpr19
	s_cbranch_execz .LBB2_564
; %bb.537:                              ;   in Loop: Header=BB2_431 Depth=1
	v_readfirstlane_b32 s2, v46
	v_mov_b64_e32 v[6:7], 0
	s_delay_alu instid0(VALU_DEP_2)
	v_cmp_eq_u32_e64 s2, s2, v46
	s_and_saveexec_b32 s3, s2
	s_cbranch_execz .LBB2_543
; %bb.538:                              ;   in Loop: Header=BB2_431 Depth=1
	global_load_b64 v[20:21], v1, s[20:21] offset:24 scope:SCOPE_SYS
	s_wait_loadcnt 0x0
	global_inv scope:SCOPE_SYS
	s_clause 0x1
	global_load_b64 v[6:7], v1, s[20:21] offset:40
	global_load_b64 v[18:19], v1, s[20:21]
	s_mov_b32 s34, exec_lo
	s_wait_loadcnt 0x1
	v_and_b32_e32 v6, v6, v20
	v_and_b32_e32 v7, v7, v21
	s_delay_alu instid0(VALU_DEP_1) | instskip(SKIP_1) | instid1(VALU_DEP_1)
	v_mul_u64_e32 v[6:7], 24, v[6:7]
	s_wait_loadcnt 0x0
	v_add_nc_u64_e32 v[6:7], v[18:19], v[6:7]
	global_load_b64 v[18:19], v[6:7], off scope:SCOPE_SYS
	s_wait_xcnt 0x0
	s_wait_loadcnt 0x0
	global_atomic_cmpswap_b64 v[6:7], v1, v[18:21], s[20:21] offset:24 th:TH_ATOMIC_RETURN scope:SCOPE_SYS
	s_wait_loadcnt 0x0
	global_inv scope:SCOPE_SYS
	s_wait_xcnt 0x0
	v_cmpx_ne_u64_e64 v[6:7], v[20:21]
	s_cbranch_execz .LBB2_542
; %bb.539:                              ;   in Loop: Header=BB2_431 Depth=1
	s_mov_b32 s35, 0
.LBB2_540:                              ;   Parent Loop BB2_431 Depth=1
                                        ; =>  This Inner Loop Header: Depth=2
	s_sleep 1
	s_clause 0x1
	global_load_b64 v[18:19], v1, s[20:21] offset:40
	global_load_b64 v[22:23], v1, s[20:21]
	v_mov_b64_e32 v[20:21], v[6:7]
	s_wait_loadcnt 0x1
	s_delay_alu instid0(VALU_DEP_1) | instskip(SKIP_1) | instid1(VALU_DEP_1)
	v_and_b32_e32 v0, v18, v20
	s_wait_loadcnt 0x0
	v_mad_nc_u64_u32 v[6:7], v0, 24, v[22:23]
	s_delay_alu instid0(VALU_DEP_3) | instskip(NEXT) | instid1(VALU_DEP_1)
	v_and_b32_e32 v0, v19, v21
	v_mad_u32 v7, v0, 24, v7
	global_load_b64 v[18:19], v[6:7], off scope:SCOPE_SYS
	s_wait_xcnt 0x0
	s_wait_loadcnt 0x0
	global_atomic_cmpswap_b64 v[6:7], v1, v[18:21], s[20:21] offset:24 th:TH_ATOMIC_RETURN scope:SCOPE_SYS
	s_wait_loadcnt 0x0
	global_inv scope:SCOPE_SYS
	v_cmp_eq_u64_e32 vcc_lo, v[6:7], v[20:21]
	s_or_b32 s35, vcc_lo, s35
	s_wait_xcnt 0x0
	s_and_not1_b32 exec_lo, exec_lo, s35
	s_cbranch_execnz .LBB2_540
; %bb.541:                              ;   in Loop: Header=BB2_431 Depth=1
	s_or_b32 exec_lo, exec_lo, s35
.LBB2_542:                              ;   in Loop: Header=BB2_431 Depth=1
	s_delay_alu instid0(SALU_CYCLE_1)
	s_or_b32 exec_lo, exec_lo, s34
.LBB2_543:                              ;   in Loop: Header=BB2_431 Depth=1
	s_delay_alu instid0(SALU_CYCLE_1)
	s_or_b32 exec_lo, exec_lo, s3
	s_wait_loadcnt 0x0
	s_clause 0x1
	global_load_b64 v[18:19], v1, s[20:21] offset:40
	global_load_b128 v[20:23], v1, s[20:21]
	v_readfirstlane_b32 s34, v6
	v_readfirstlane_b32 s35, v7
	s_mov_b32 s3, exec_lo
	s_wait_loadcnt 0x1
	v_and_b32_e32 v18, s34, v18
	v_and_b32_e32 v19, s35, v19
	s_delay_alu instid0(VALU_DEP_1) | instskip(SKIP_1) | instid1(VALU_DEP_1)
	v_mul_u64_e32 v[6:7], 24, v[18:19]
	s_wait_loadcnt 0x0
	v_add_nc_u64_e32 v[6:7], v[20:21], v[6:7]
	s_wait_xcnt 0x0
	s_and_saveexec_b32 s36, s2
	s_cbranch_execz .LBB2_545
; %bb.544:                              ;   in Loop: Header=BB2_431 Depth=1
	v_mov_b32_e32 v0, s3
	global_store_b128 v[6:7], v[0:3], off offset:8
.LBB2_545:                              ;   in Loop: Header=BB2_431 Depth=1
	s_wait_xcnt 0x0
	s_or_b32 exec_lo, exec_lo, s36
	v_lshlrev_b64_e32 v[18:19], 12, v[18:19]
	v_mov_b64_e32 v[26:27], s[10:11]
	v_mov_b64_e32 v[24:25], s[8:9]
	v_and_or_b32 v16, 0xffffff1f, v16, 32
	s_delay_alu instid0(VALU_DEP_4) | instskip(SKIP_1) | instid1(VALU_DEP_2)
	v_add_nc_u64_e32 v[22:23], v[22:23], v[18:19]
	v_dual_mov_b32 v18, v1 :: v_dual_mov_b32 v19, v1
	v_readfirstlane_b32 s36, v22
	s_delay_alu instid0(VALU_DEP_3)
	v_readfirstlane_b32 s37, v23
	s_clause 0x3
	global_store_b128 v38, v[16:19], s[36:37]
	global_store_b128 v38, v[24:27], s[36:37] offset:16
	global_store_b128 v38, v[24:27], s[36:37] offset:32
	;; [unrolled: 1-line block ×3, first 2 shown]
	s_wait_xcnt 0x0
	s_and_saveexec_b32 s3, s2
	s_cbranch_execz .LBB2_553
; %bb.546:                              ;   in Loop: Header=BB2_431 Depth=1
	s_clause 0x1
	global_load_b64 v[26:27], v1, s[20:21] offset:32 scope:SCOPE_SYS
	global_load_b64 v[16:17], v1, s[20:21] offset:40
	s_mov_b32 s36, exec_lo
	v_dual_mov_b32 v24, s34 :: v_dual_mov_b32 v25, s35
	s_wait_loadcnt 0x0
	v_and_b32_e32 v17, s35, v17
	v_and_b32_e32 v16, s34, v16
	s_delay_alu instid0(VALU_DEP_1) | instskip(NEXT) | instid1(VALU_DEP_1)
	v_mul_u64_e32 v[16:17], 24, v[16:17]
	v_add_nc_u64_e32 v[20:21], v[20:21], v[16:17]
	global_store_b64 v[20:21], v[26:27], off
	global_wb scope:SCOPE_SYS
	s_wait_storecnt 0x0
	s_wait_xcnt 0x0
	global_atomic_cmpswap_b64 v[18:19], v1, v[24:27], s[20:21] offset:32 th:TH_ATOMIC_RETURN scope:SCOPE_SYS
	s_wait_loadcnt 0x0
	v_cmpx_ne_u64_e64 v[18:19], v[26:27]
	s_cbranch_execz .LBB2_549
; %bb.547:                              ;   in Loop: Header=BB2_431 Depth=1
	s_mov_b32 s37, 0
.LBB2_548:                              ;   Parent Loop BB2_431 Depth=1
                                        ; =>  This Inner Loop Header: Depth=2
	v_dual_mov_b32 v16, s34 :: v_dual_mov_b32 v17, s35
	s_sleep 1
	global_store_b64 v[20:21], v[18:19], off
	global_wb scope:SCOPE_SYS
	s_wait_storecnt 0x0
	s_wait_xcnt 0x0
	global_atomic_cmpswap_b64 v[16:17], v1, v[16:19], s[20:21] offset:32 th:TH_ATOMIC_RETURN scope:SCOPE_SYS
	s_wait_loadcnt 0x0
	v_cmp_eq_u64_e32 vcc_lo, v[16:17], v[18:19]
	v_mov_b64_e32 v[18:19], v[16:17]
	s_or_b32 s37, vcc_lo, s37
	s_delay_alu instid0(SALU_CYCLE_1)
	s_and_not1_b32 exec_lo, exec_lo, s37
	s_cbranch_execnz .LBB2_548
.LBB2_549:                              ;   in Loop: Header=BB2_431 Depth=1
	s_or_b32 exec_lo, exec_lo, s36
	global_load_b64 v[16:17], v1, s[20:21] offset:16
	s_mov_b32 s37, exec_lo
	s_mov_b32 s36, exec_lo
	v_mbcnt_lo_u32_b32 v0, s37, 0
	s_wait_xcnt 0x0
	s_delay_alu instid0(VALU_DEP_1)
	v_cmpx_eq_u32_e32 0, v0
	s_cbranch_execz .LBB2_551
; %bb.550:                              ;   in Loop: Header=BB2_431 Depth=1
	s_bcnt1_i32_b32 s37, s37
	s_delay_alu instid0(SALU_CYCLE_1)
	v_mov_b32_e32 v0, s37
	global_wb scope:SCOPE_SYS
	s_wait_loadcnt 0x0
	s_wait_storecnt 0x0
	global_atomic_add_u64 v[16:17], v[0:1], off offset:8 scope:SCOPE_SYS
.LBB2_551:                              ;   in Loop: Header=BB2_431 Depth=1
	s_wait_xcnt 0x0
	s_or_b32 exec_lo, exec_lo, s36
	s_wait_loadcnt 0x0
	global_load_b64 v[18:19], v[16:17], off offset:16
	s_wait_loadcnt 0x0
	v_cmp_eq_u64_e32 vcc_lo, 0, v[18:19]
	s_cbranch_vccnz .LBB2_553
; %bb.552:                              ;   in Loop: Header=BB2_431 Depth=1
	global_load_b32 v0, v[16:17], off offset:24
	s_wait_loadcnt 0x0
	v_readfirstlane_b32 s36, v0
	global_wb scope:SCOPE_SYS
	s_wait_storecnt 0x0
	s_wait_xcnt 0x0
	global_store_b64 v[18:19], v[0:1], off scope:SCOPE_SYS
	s_and_b32 m0, s36, 0xffffff
	s_sendmsg sendmsg(MSG_INTERRUPT)
.LBB2_553:                              ;   in Loop: Header=BB2_431 Depth=1
	s_wait_xcnt 0x0
	s_or_b32 exec_lo, exec_lo, s3
	v_mov_b32_e32 v39, v1
	s_delay_alu instid0(VALU_DEP_1)
	v_add_nc_u64_e32 v[16:17], v[22:23], v[38:39]
	s_branch .LBB2_557
.LBB2_554:                              ;   in Loop: Header=BB2_557 Depth=2
	s_wait_xcnt 0x0
	s_or_b32 exec_lo, exec_lo, s3
	s_delay_alu instid0(VALU_DEP_1)
	v_readfirstlane_b32 s3, v0
	s_cmp_eq_u32 s3, 0
	s_cbranch_scc1 .LBB2_556
; %bb.555:                              ;   in Loop: Header=BB2_557 Depth=2
	s_sleep 1
	s_cbranch_execnz .LBB2_557
	s_branch .LBB2_559
.LBB2_556:                              ;   in Loop: Header=BB2_431 Depth=1
	s_branch .LBB2_559
.LBB2_557:                              ;   Parent Loop BB2_431 Depth=1
                                        ; =>  This Inner Loop Header: Depth=2
	v_mov_b32_e32 v0, 1
	s_and_saveexec_b32 s3, s2
	s_cbranch_execz .LBB2_554
; %bb.558:                              ;   in Loop: Header=BB2_557 Depth=2
	global_load_b32 v0, v[6:7], off offset:20 scope:SCOPE_SYS
	s_wait_loadcnt 0x0
	global_inv scope:SCOPE_SYS
	v_and_b32_e32 v0, 1, v0
	s_branch .LBB2_554
.LBB2_559:                              ;   in Loop: Header=BB2_431 Depth=1
	global_load_b64 v[18:19], v[16:17], off
	s_wait_xcnt 0x0
	s_and_saveexec_b32 s36, s2
	s_cbranch_execz .LBB2_563
; %bb.560:                              ;   in Loop: Header=BB2_431 Depth=1
	s_clause 0x2
	global_load_b64 v[6:7], v1, s[20:21] offset:40
	global_load_b64 v[24:25], v1, s[20:21] offset:24 scope:SCOPE_SYS
	global_load_b64 v[16:17], v1, s[20:21]
	s_wait_loadcnt 0x2
	v_readfirstlane_b32 s38, v6
	v_readfirstlane_b32 s39, v7
	s_add_nc_u64 s[2:3], s[38:39], 1
	s_delay_alu instid0(SALU_CYCLE_1) | instskip(NEXT) | instid1(SALU_CYCLE_1)
	s_add_nc_u64 s[34:35], s[2:3], s[34:35]
	s_cmp_eq_u64 s[34:35], 0
	s_cselect_b32 s3, s3, s35
	s_cselect_b32 s2, s2, s34
	s_delay_alu instid0(SALU_CYCLE_1) | instskip(SKIP_1) | instid1(SALU_CYCLE_1)
	v_dual_mov_b32 v23, s3 :: v_dual_mov_b32 v22, s2
	s_and_b64 s[34:35], s[2:3], s[38:39]
	s_mul_u64 s[34:35], s[34:35], 24
	s_wait_loadcnt 0x0
	v_add_nc_u64_e32 v[6:7], s[34:35], v[16:17]
	global_store_b64 v[6:7], v[24:25], off
	global_wb scope:SCOPE_SYS
	s_wait_storecnt 0x0
	s_wait_xcnt 0x0
	global_atomic_cmpswap_b64 v[22:23], v1, v[22:25], s[20:21] offset:24 th:TH_ATOMIC_RETURN scope:SCOPE_SYS
	s_wait_loadcnt 0x0
	v_cmp_ne_u64_e32 vcc_lo, v[22:23], v[24:25]
	s_and_b32 exec_lo, exec_lo, vcc_lo
	s_cbranch_execz .LBB2_563
; %bb.561:                              ;   in Loop: Header=BB2_431 Depth=1
	s_mov_b32 s34, 0
.LBB2_562:                              ;   Parent Loop BB2_431 Depth=1
                                        ; =>  This Inner Loop Header: Depth=2
	v_dual_mov_b32 v20, s2 :: v_dual_mov_b32 v21, s3
	s_sleep 1
	global_store_b64 v[6:7], v[22:23], off
	global_wb scope:SCOPE_SYS
	s_wait_storecnt 0x0
	s_wait_xcnt 0x0
	global_atomic_cmpswap_b64 v[16:17], v1, v[20:23], s[20:21] offset:24 th:TH_ATOMIC_RETURN scope:SCOPE_SYS
	s_wait_loadcnt 0x0
	v_cmp_eq_u64_e32 vcc_lo, v[16:17], v[22:23]
	v_mov_b64_e32 v[22:23], v[16:17]
	s_or_b32 s34, vcc_lo, s34
	s_delay_alu instid0(SALU_CYCLE_1)
	s_and_not1_b32 exec_lo, exec_lo, s34
	s_cbranch_execnz .LBB2_562
.LBB2_563:                              ;   in Loop: Header=BB2_431 Depth=1
	s_or_b32 exec_lo, exec_lo, s36
.LBB2_564:                              ;   in Loop: Header=BB2_431 Depth=1
	v_readfirstlane_b32 s2, v46
	v_mov_b64_e32 v[6:7], 0
	s_delay_alu instid0(VALU_DEP_2)
	v_cmp_eq_u32_e64 s2, s2, v46
	s_and_saveexec_b32 s3, s2
	s_cbranch_execz .LBB2_570
; %bb.565:                              ;   in Loop: Header=BB2_431 Depth=1
	global_load_b64 v[22:23], v1, s[20:21] offset:24 scope:SCOPE_SYS
	s_wait_loadcnt 0x0
	global_inv scope:SCOPE_SYS
	s_clause 0x1
	global_load_b64 v[6:7], v1, s[20:21] offset:40
	global_load_b64 v[16:17], v1, s[20:21]
	s_mov_b32 s34, exec_lo
	s_wait_loadcnt 0x1
	v_and_b32_e32 v6, v6, v22
	v_and_b32_e32 v7, v7, v23
	s_delay_alu instid0(VALU_DEP_1) | instskip(SKIP_1) | instid1(VALU_DEP_1)
	v_mul_u64_e32 v[6:7], 24, v[6:7]
	s_wait_loadcnt 0x0
	v_add_nc_u64_e32 v[6:7], v[16:17], v[6:7]
	global_load_b64 v[20:21], v[6:7], off scope:SCOPE_SYS
	s_wait_xcnt 0x0
	s_wait_loadcnt 0x0
	global_atomic_cmpswap_b64 v[6:7], v1, v[20:23], s[20:21] offset:24 th:TH_ATOMIC_RETURN scope:SCOPE_SYS
	s_wait_loadcnt 0x0
	global_inv scope:SCOPE_SYS
	s_wait_xcnt 0x0
	v_cmpx_ne_u64_e64 v[6:7], v[22:23]
	s_cbranch_execz .LBB2_569
; %bb.566:                              ;   in Loop: Header=BB2_431 Depth=1
	s_mov_b32 s35, 0
.LBB2_567:                              ;   Parent Loop BB2_431 Depth=1
                                        ; =>  This Inner Loop Header: Depth=2
	s_sleep 1
	s_clause 0x1
	global_load_b64 v[16:17], v1, s[20:21] offset:40
	global_load_b64 v[20:21], v1, s[20:21]
	v_mov_b64_e32 v[22:23], v[6:7]
	s_wait_loadcnt 0x1
	s_delay_alu instid0(VALU_DEP_1) | instskip(SKIP_1) | instid1(VALU_DEP_1)
	v_and_b32_e32 v0, v16, v22
	s_wait_loadcnt 0x0
	v_mad_nc_u64_u32 v[6:7], v0, 24, v[20:21]
	s_delay_alu instid0(VALU_DEP_3) | instskip(NEXT) | instid1(VALU_DEP_1)
	v_and_b32_e32 v0, v17, v23
	v_mad_u32 v7, v0, 24, v7
	global_load_b64 v[20:21], v[6:7], off scope:SCOPE_SYS
	s_wait_xcnt 0x0
	s_wait_loadcnt 0x0
	global_atomic_cmpswap_b64 v[6:7], v1, v[20:23], s[20:21] offset:24 th:TH_ATOMIC_RETURN scope:SCOPE_SYS
	s_wait_loadcnt 0x0
	global_inv scope:SCOPE_SYS
	v_cmp_eq_u64_e32 vcc_lo, v[6:7], v[22:23]
	s_or_b32 s35, vcc_lo, s35
	s_wait_xcnt 0x0
	s_and_not1_b32 exec_lo, exec_lo, s35
	s_cbranch_execnz .LBB2_567
; %bb.568:                              ;   in Loop: Header=BB2_431 Depth=1
	s_or_b32 exec_lo, exec_lo, s35
.LBB2_569:                              ;   in Loop: Header=BB2_431 Depth=1
	s_delay_alu instid0(SALU_CYCLE_1)
	s_or_b32 exec_lo, exec_lo, s34
.LBB2_570:                              ;   in Loop: Header=BB2_431 Depth=1
	s_delay_alu instid0(SALU_CYCLE_1)
	s_or_b32 exec_lo, exec_lo, s3
	s_wait_loadcnt 0x0
	s_clause 0x1
	global_load_b64 v[16:17], v1, s[20:21] offset:40
	global_load_b128 v[22:25], v1, s[20:21]
	v_readfirstlane_b32 s34, v6
	v_readfirstlane_b32 s35, v7
	s_mov_b32 s3, exec_lo
	s_wait_loadcnt 0x1
	v_and_b32_e32 v16, s34, v16
	v_and_b32_e32 v17, s35, v17
	s_delay_alu instid0(VALU_DEP_1) | instskip(SKIP_1) | instid1(VALU_DEP_1)
	v_mul_u64_e32 v[6:7], 24, v[16:17]
	s_wait_loadcnt 0x0
	v_add_nc_u64_e32 v[6:7], v[22:23], v[6:7]
	s_wait_xcnt 0x0
	s_and_saveexec_b32 s36, s2
	s_cbranch_execz .LBB2_572
; %bb.571:                              ;   in Loop: Header=BB2_431 Depth=1
	v_mov_b32_e32 v0, s3
	global_store_b128 v[6:7], v[0:3], off offset:8
.LBB2_572:                              ;   in Loop: Header=BB2_431 Depth=1
	s_wait_xcnt 0x0
	s_or_b32 exec_lo, exec_lo, s36
	v_lshlrev_b64_e32 v[16:17], 12, v[16:17]
	s_add_co_i32 s17, s17, 1
	v_and_or_b32 v18, 0xffffff1d, v18, 34
	v_dual_mov_b32 v21, v1 :: v_dual_mov_b32 v20, s17
	s_delay_alu instid0(VALU_DEP_3) | instskip(SKIP_2) | instid1(VALU_DEP_3)
	v_add_nc_u64_e32 v[16:17], v[24:25], v[16:17]
	v_mov_b64_e32 v[26:27], s[10:11]
	v_mov_b64_e32 v[24:25], s[8:9]
	v_readfirstlane_b32 s36, v16
	s_delay_alu instid0(VALU_DEP_4)
	v_readfirstlane_b32 s37, v17
	s_clause 0x3
	global_store_b128 v38, v[18:21], s[36:37]
	global_store_b128 v38, v[24:27], s[36:37] offset:16
	global_store_b128 v38, v[24:27], s[36:37] offset:32
	;; [unrolled: 1-line block ×3, first 2 shown]
	s_wait_xcnt 0x0
	s_and_saveexec_b32 s3, s2
	s_cbranch_execz .LBB2_580
; %bb.573:                              ;   in Loop: Header=BB2_431 Depth=1
	s_clause 0x1
	global_load_b64 v[24:25], v1, s[20:21] offset:32 scope:SCOPE_SYS
	global_load_b64 v[16:17], v1, s[20:21] offset:40
	s_mov_b32 s36, exec_lo
	s_wait_loadcnt 0x0
	v_and_b32_e32 v16, s34, v16
	v_and_b32_e32 v17, s35, v17
	s_delay_alu instid0(VALU_DEP_1) | instskip(NEXT) | instid1(VALU_DEP_1)
	v_mul_u64_e32 v[16:17], 24, v[16:17]
	v_add_nc_u64_e32 v[20:21], v[22:23], v[16:17]
	v_dual_mov_b32 v22, s34 :: v_dual_mov_b32 v23, s35
	global_store_b64 v[20:21], v[24:25], off
	global_wb scope:SCOPE_SYS
	s_wait_storecnt 0x0
	s_wait_xcnt 0x0
	global_atomic_cmpswap_b64 v[18:19], v1, v[22:25], s[20:21] offset:32 th:TH_ATOMIC_RETURN scope:SCOPE_SYS
	s_wait_loadcnt 0x0
	v_cmpx_ne_u64_e64 v[18:19], v[24:25]
	s_cbranch_execz .LBB2_576
; %bb.574:                              ;   in Loop: Header=BB2_431 Depth=1
	s_mov_b32 s37, 0
.LBB2_575:                              ;   Parent Loop BB2_431 Depth=1
                                        ; =>  This Inner Loop Header: Depth=2
	v_dual_mov_b32 v16, s34 :: v_dual_mov_b32 v17, s35
	s_sleep 1
	global_store_b64 v[20:21], v[18:19], off
	global_wb scope:SCOPE_SYS
	s_wait_storecnt 0x0
	s_wait_xcnt 0x0
	global_atomic_cmpswap_b64 v[16:17], v1, v[16:19], s[20:21] offset:32 th:TH_ATOMIC_RETURN scope:SCOPE_SYS
	s_wait_loadcnt 0x0
	v_cmp_eq_u64_e32 vcc_lo, v[16:17], v[18:19]
	v_mov_b64_e32 v[18:19], v[16:17]
	s_or_b32 s37, vcc_lo, s37
	s_delay_alu instid0(SALU_CYCLE_1)
	s_and_not1_b32 exec_lo, exec_lo, s37
	s_cbranch_execnz .LBB2_575
.LBB2_576:                              ;   in Loop: Header=BB2_431 Depth=1
	s_or_b32 exec_lo, exec_lo, s36
	global_load_b64 v[16:17], v1, s[20:21] offset:16
	s_mov_b32 s37, exec_lo
	s_mov_b32 s36, exec_lo
	v_mbcnt_lo_u32_b32 v0, s37, 0
	s_wait_xcnt 0x0
	s_delay_alu instid0(VALU_DEP_1)
	v_cmpx_eq_u32_e32 0, v0
	s_cbranch_execz .LBB2_578
; %bb.577:                              ;   in Loop: Header=BB2_431 Depth=1
	s_bcnt1_i32_b32 s37, s37
	s_delay_alu instid0(SALU_CYCLE_1)
	v_mov_b32_e32 v0, s37
	global_wb scope:SCOPE_SYS
	s_wait_loadcnt 0x0
	s_wait_storecnt 0x0
	global_atomic_add_u64 v[16:17], v[0:1], off offset:8 scope:SCOPE_SYS
.LBB2_578:                              ;   in Loop: Header=BB2_431 Depth=1
	s_wait_xcnt 0x0
	s_or_b32 exec_lo, exec_lo, s36
	s_wait_loadcnt 0x0
	global_load_b64 v[18:19], v[16:17], off offset:16
	s_wait_loadcnt 0x0
	v_cmp_eq_u64_e32 vcc_lo, 0, v[18:19]
	s_cbranch_vccnz .LBB2_580
; %bb.579:                              ;   in Loop: Header=BB2_431 Depth=1
	global_load_b32 v0, v[16:17], off offset:24
	s_wait_loadcnt 0x0
	v_readfirstlane_b32 s36, v0
	global_wb scope:SCOPE_SYS
	s_wait_storecnt 0x0
	s_wait_xcnt 0x0
	global_store_b64 v[18:19], v[0:1], off scope:SCOPE_SYS
	s_and_b32 m0, s36, 0xffffff
	s_sendmsg sendmsg(MSG_INTERRUPT)
.LBB2_580:                              ;   in Loop: Header=BB2_431 Depth=1
	s_wait_xcnt 0x0
	s_or_b32 exec_lo, exec_lo, s3
	s_branch .LBB2_584
.LBB2_581:                              ;   in Loop: Header=BB2_584 Depth=2
	s_wait_xcnt 0x0
	s_or_b32 exec_lo, exec_lo, s3
	s_delay_alu instid0(VALU_DEP_1)
	v_readfirstlane_b32 s3, v0
	s_cmp_eq_u32 s3, 0
	s_cbranch_scc1 .LBB2_583
; %bb.582:                              ;   in Loop: Header=BB2_584 Depth=2
	s_sleep 1
	s_cbranch_execnz .LBB2_584
	s_branch .LBB2_586
.LBB2_583:                              ;   in Loop: Header=BB2_431 Depth=1
	s_branch .LBB2_586
.LBB2_584:                              ;   Parent Loop BB2_431 Depth=1
                                        ; =>  This Inner Loop Header: Depth=2
	v_mov_b32_e32 v0, 1
	s_and_saveexec_b32 s3, s2
	s_cbranch_execz .LBB2_581
; %bb.585:                              ;   in Loop: Header=BB2_584 Depth=2
	global_load_b32 v0, v[6:7], off offset:20 scope:SCOPE_SYS
	s_wait_loadcnt 0x0
	global_inv scope:SCOPE_SYS
	v_and_b32_e32 v0, 1, v0
	s_branch .LBB2_581
.LBB2_586:                              ;   in Loop: Header=BB2_431 Depth=1
	s_and_saveexec_b32 s36, s2
	s_cbranch_execz .LBB2_590
; %bb.587:                              ;   in Loop: Header=BB2_431 Depth=1
	s_clause 0x2
	global_load_b64 v[6:7], v1, s[20:21] offset:40
	global_load_b64 v[20:21], v1, s[20:21] offset:24 scope:SCOPE_SYS
	global_load_b64 v[16:17], v1, s[20:21]
	s_wait_loadcnt 0x2
	v_readfirstlane_b32 s38, v6
	v_readfirstlane_b32 s39, v7
	s_add_nc_u64 s[2:3], s[38:39], 1
	s_delay_alu instid0(SALU_CYCLE_1) | instskip(NEXT) | instid1(SALU_CYCLE_1)
	s_add_nc_u64 s[34:35], s[2:3], s[34:35]
	s_cmp_eq_u64 s[34:35], 0
	s_cselect_b32 s3, s3, s35
	s_cselect_b32 s2, s2, s34
	s_delay_alu instid0(SALU_CYCLE_1) | instskip(SKIP_1) | instid1(SALU_CYCLE_1)
	v_dual_mov_b32 v19, s3 :: v_dual_mov_b32 v18, s2
	s_and_b64 s[34:35], s[2:3], s[38:39]
	s_mul_u64 s[34:35], s[34:35], 24
	s_wait_loadcnt 0x0
	v_add_nc_u64_e32 v[6:7], s[34:35], v[16:17]
	global_store_b64 v[6:7], v[20:21], off
	global_wb scope:SCOPE_SYS
	s_wait_storecnt 0x0
	s_wait_xcnt 0x0
	global_atomic_cmpswap_b64 v[18:19], v1, v[18:21], s[20:21] offset:24 th:TH_ATOMIC_RETURN scope:SCOPE_SYS
	s_wait_loadcnt 0x0
	v_cmp_ne_u64_e32 vcc_lo, v[18:19], v[20:21]
	s_and_b32 exec_lo, exec_lo, vcc_lo
	s_cbranch_execz .LBB2_590
; %bb.588:                              ;   in Loop: Header=BB2_431 Depth=1
	s_mov_b32 s34, 0
.LBB2_589:                              ;   Parent Loop BB2_431 Depth=1
                                        ; =>  This Inner Loop Header: Depth=2
	v_dual_mov_b32 v16, s2 :: v_dual_mov_b32 v17, s3
	s_sleep 1
	global_store_b64 v[6:7], v[18:19], off
	global_wb scope:SCOPE_SYS
	s_wait_storecnt 0x0
	s_wait_xcnt 0x0
	global_atomic_cmpswap_b64 v[16:17], v1, v[16:19], s[20:21] offset:24 th:TH_ATOMIC_RETURN scope:SCOPE_SYS
	s_wait_loadcnt 0x0
	v_cmp_eq_u64_e32 vcc_lo, v[16:17], v[18:19]
	v_mov_b64_e32 v[18:19], v[16:17]
	s_or_b32 s34, vcc_lo, s34
	s_delay_alu instid0(SALU_CYCLE_1)
	s_and_not1_b32 exec_lo, exec_lo, s34
	s_cbranch_execnz .LBB2_589
.LBB2_590:                              ;   in Loop: Header=BB2_431 Depth=1
	s_or_b32 exec_lo, exec_lo, s36
	v_readfirstlane_b32 s2, v46
	v_mov_b64_e32 v[6:7], 0
	s_delay_alu instid0(VALU_DEP_2)
	v_cmp_eq_u32_e64 s2, s2, v46
	s_and_saveexec_b32 s3, s2
	s_cbranch_execz .LBB2_596
; %bb.591:                              ;   in Loop: Header=BB2_431 Depth=1
	global_load_b64 v[18:19], v1, s[20:21] offset:24 scope:SCOPE_SYS
	s_wait_loadcnt 0x0
	global_inv scope:SCOPE_SYS
	s_clause 0x1
	global_load_b64 v[6:7], v1, s[20:21] offset:40
	global_load_b64 v[16:17], v1, s[20:21]
	s_mov_b32 s34, exec_lo
	s_wait_loadcnt 0x1
	v_and_b32_e32 v6, v6, v18
	v_and_b32_e32 v7, v7, v19
	s_delay_alu instid0(VALU_DEP_1) | instskip(SKIP_1) | instid1(VALU_DEP_1)
	v_mul_u64_e32 v[6:7], 24, v[6:7]
	s_wait_loadcnt 0x0
	v_add_nc_u64_e32 v[6:7], v[16:17], v[6:7]
	global_load_b64 v[16:17], v[6:7], off scope:SCOPE_SYS
	s_wait_xcnt 0x0
	s_wait_loadcnt 0x0
	global_atomic_cmpswap_b64 v[6:7], v1, v[16:19], s[20:21] offset:24 th:TH_ATOMIC_RETURN scope:SCOPE_SYS
	s_wait_loadcnt 0x0
	global_inv scope:SCOPE_SYS
	s_wait_xcnt 0x0
	v_cmpx_ne_u64_e64 v[6:7], v[18:19]
	s_cbranch_execz .LBB2_595
; %bb.592:                              ;   in Loop: Header=BB2_431 Depth=1
	s_mov_b32 s35, 0
.LBB2_593:                              ;   Parent Loop BB2_431 Depth=1
                                        ; =>  This Inner Loop Header: Depth=2
	s_sleep 1
	s_clause 0x1
	global_load_b64 v[16:17], v1, s[20:21] offset:40
	global_load_b64 v[20:21], v1, s[20:21]
	v_mov_b64_e32 v[18:19], v[6:7]
	s_wait_loadcnt 0x1
	s_delay_alu instid0(VALU_DEP_1) | instskip(SKIP_1) | instid1(VALU_DEP_1)
	v_and_b32_e32 v0, v16, v18
	s_wait_loadcnt 0x0
	v_mad_nc_u64_u32 v[6:7], v0, 24, v[20:21]
	s_delay_alu instid0(VALU_DEP_3) | instskip(NEXT) | instid1(VALU_DEP_1)
	v_and_b32_e32 v0, v17, v19
	v_mad_u32 v7, v0, 24, v7
	global_load_b64 v[16:17], v[6:7], off scope:SCOPE_SYS
	s_wait_xcnt 0x0
	s_wait_loadcnt 0x0
	global_atomic_cmpswap_b64 v[6:7], v1, v[16:19], s[20:21] offset:24 th:TH_ATOMIC_RETURN scope:SCOPE_SYS
	s_wait_loadcnt 0x0
	global_inv scope:SCOPE_SYS
	v_cmp_eq_u64_e32 vcc_lo, v[6:7], v[18:19]
	s_or_b32 s35, vcc_lo, s35
	s_wait_xcnt 0x0
	s_and_not1_b32 exec_lo, exec_lo, s35
	s_cbranch_execnz .LBB2_593
; %bb.594:                              ;   in Loop: Header=BB2_431 Depth=1
	s_or_b32 exec_lo, exec_lo, s35
.LBB2_595:                              ;   in Loop: Header=BB2_431 Depth=1
	s_delay_alu instid0(SALU_CYCLE_1)
	s_or_b32 exec_lo, exec_lo, s34
.LBB2_596:                              ;   in Loop: Header=BB2_431 Depth=1
	s_delay_alu instid0(SALU_CYCLE_1)
	s_or_b32 exec_lo, exec_lo, s3
	s_clause 0x1
	global_load_b64 v[20:21], v1, s[20:21] offset:40
	global_load_b128 v[16:19], v1, s[20:21]
	v_readfirstlane_b32 s34, v6
	v_readfirstlane_b32 s35, v7
	s_mov_b32 s3, exec_lo
	s_wait_loadcnt 0x1
	v_and_b32_e32 v6, s34, v20
	v_and_b32_e32 v7, s35, v21
	s_delay_alu instid0(VALU_DEP_1) | instskip(SKIP_1) | instid1(VALU_DEP_1)
	v_mul_u64_e32 v[20:21], 24, v[6:7]
	s_wait_loadcnt 0x0
	v_add_nc_u64_e32 v[20:21], v[16:17], v[20:21]
	s_wait_xcnt 0x0
	s_and_saveexec_b32 s36, s2
	s_cbranch_execz .LBB2_598
; %bb.597:                              ;   in Loop: Header=BB2_431 Depth=1
	v_mov_b32_e32 v0, s3
	global_store_b128 v[20:21], v[0:3], off offset:8
.LBB2_598:                              ;   in Loop: Header=BB2_431 Depth=1
	s_wait_xcnt 0x0
	s_or_b32 exec_lo, exec_lo, s36
	v_lshlrev_b64_e32 v[6:7], 12, v[6:7]
	v_mov_b64_e32 v[26:27], s[10:11]
	v_mov_b64_e32 v[24:25], s[8:9]
	v_mov_b32_e32 v5, v1
	s_delay_alu instid0(VALU_DEP_4) | instskip(SKIP_1) | instid1(VALU_DEP_2)
	v_add_nc_u64_e32 v[22:23], v[18:19], v[6:7]
	v_dual_mov_b32 v6, v1 :: v_dual_mov_b32 v7, v1
	v_readfirstlane_b32 s36, v22
	s_delay_alu instid0(VALU_DEP_3)
	v_readfirstlane_b32 s37, v23
	s_clause 0x3
	global_store_b128 v38, v[4:7], s[36:37]
	global_store_b128 v38, v[24:27], s[36:37] offset:16
	global_store_b128 v38, v[24:27], s[36:37] offset:32
	global_store_b128 v38, v[24:27], s[36:37] offset:48
	s_wait_xcnt 0x0
	s_and_saveexec_b32 s3, s2
	s_cbranch_execz .LBB2_606
; %bb.599:                              ;   in Loop: Header=BB2_431 Depth=1
	s_clause 0x1
	global_load_b64 v[26:27], v1, s[20:21] offset:32 scope:SCOPE_SYS
	global_load_b64 v[6:7], v1, s[20:21] offset:40
	s_mov_b32 s36, exec_lo
	v_dual_mov_b32 v24, s34 :: v_dual_mov_b32 v25, s35
	s_wait_loadcnt 0x0
	v_and_b32_e32 v7, s35, v7
	v_and_b32_e32 v6, s34, v6
	s_delay_alu instid0(VALU_DEP_1) | instskip(NEXT) | instid1(VALU_DEP_1)
	v_mul_u64_e32 v[6:7], 24, v[6:7]
	v_add_nc_u64_e32 v[6:7], v[16:17], v[6:7]
	global_store_b64 v[6:7], v[26:27], off
	global_wb scope:SCOPE_SYS
	s_wait_storecnt 0x0
	s_wait_xcnt 0x0
	global_atomic_cmpswap_b64 v[18:19], v1, v[24:27], s[20:21] offset:32 th:TH_ATOMIC_RETURN scope:SCOPE_SYS
	s_wait_loadcnt 0x0
	v_cmpx_ne_u64_e64 v[18:19], v[26:27]
	s_cbranch_execz .LBB2_602
; %bb.600:                              ;   in Loop: Header=BB2_431 Depth=1
	s_mov_b32 s37, 0
.LBB2_601:                              ;   Parent Loop BB2_431 Depth=1
                                        ; =>  This Inner Loop Header: Depth=2
	v_dual_mov_b32 v16, s34 :: v_dual_mov_b32 v17, s35
	s_sleep 1
	global_store_b64 v[6:7], v[18:19], off
	global_wb scope:SCOPE_SYS
	s_wait_storecnt 0x0
	s_wait_xcnt 0x0
	global_atomic_cmpswap_b64 v[16:17], v1, v[16:19], s[20:21] offset:32 th:TH_ATOMIC_RETURN scope:SCOPE_SYS
	s_wait_loadcnt 0x0
	v_cmp_eq_u64_e32 vcc_lo, v[16:17], v[18:19]
	v_mov_b64_e32 v[18:19], v[16:17]
	s_or_b32 s37, vcc_lo, s37
	s_delay_alu instid0(SALU_CYCLE_1)
	s_and_not1_b32 exec_lo, exec_lo, s37
	s_cbranch_execnz .LBB2_601
.LBB2_602:                              ;   in Loop: Header=BB2_431 Depth=1
	s_or_b32 exec_lo, exec_lo, s36
	global_load_b64 v[6:7], v1, s[20:21] offset:16
	s_mov_b32 s37, exec_lo
	s_mov_b32 s36, exec_lo
	v_mbcnt_lo_u32_b32 v0, s37, 0
	s_wait_xcnt 0x0
	s_delay_alu instid0(VALU_DEP_1)
	v_cmpx_eq_u32_e32 0, v0
	s_cbranch_execz .LBB2_604
; %bb.603:                              ;   in Loop: Header=BB2_431 Depth=1
	s_bcnt1_i32_b32 s37, s37
	s_delay_alu instid0(SALU_CYCLE_1)
	v_mov_b32_e32 v0, s37
	global_wb scope:SCOPE_SYS
	s_wait_loadcnt 0x0
	s_wait_storecnt 0x0
	global_atomic_add_u64 v[6:7], v[0:1], off offset:8 scope:SCOPE_SYS
.LBB2_604:                              ;   in Loop: Header=BB2_431 Depth=1
	s_wait_xcnt 0x0
	s_or_b32 exec_lo, exec_lo, s36
	s_wait_loadcnt 0x0
	global_load_b64 v[16:17], v[6:7], off offset:16
	s_wait_loadcnt 0x0
	v_cmp_eq_u64_e32 vcc_lo, 0, v[16:17]
	s_cbranch_vccnz .LBB2_606
; %bb.605:                              ;   in Loop: Header=BB2_431 Depth=1
	global_load_b32 v0, v[6:7], off offset:24
	s_wait_loadcnt 0x0
	v_readfirstlane_b32 s36, v0
	global_wb scope:SCOPE_SYS
	s_wait_storecnt 0x0
	s_wait_xcnt 0x0
	global_store_b64 v[16:17], v[0:1], off scope:SCOPE_SYS
	s_and_b32 m0, s36, 0xffffff
	s_sendmsg sendmsg(MSG_INTERRUPT)
.LBB2_606:                              ;   in Loop: Header=BB2_431 Depth=1
	s_wait_xcnt 0x0
	s_or_b32 exec_lo, exec_lo, s3
	v_mov_b32_e32 v39, v1
	s_delay_alu instid0(VALU_DEP_1)
	v_add_nc_u64_e32 v[6:7], v[22:23], v[38:39]
	s_branch .LBB2_610
.LBB2_607:                              ;   in Loop: Header=BB2_610 Depth=2
	s_wait_xcnt 0x0
	s_or_b32 exec_lo, exec_lo, s3
	s_delay_alu instid0(VALU_DEP_1)
	v_readfirstlane_b32 s3, v0
	s_cmp_eq_u32 s3, 0
	s_cbranch_scc1 .LBB2_609
; %bb.608:                              ;   in Loop: Header=BB2_610 Depth=2
	s_sleep 1
	s_cbranch_execnz .LBB2_610
	s_branch .LBB2_612
.LBB2_609:                              ;   in Loop: Header=BB2_431 Depth=1
	s_branch .LBB2_612
.LBB2_610:                              ;   Parent Loop BB2_431 Depth=1
                                        ; =>  This Inner Loop Header: Depth=2
	v_mov_b32_e32 v0, 1
	s_and_saveexec_b32 s3, s2
	s_cbranch_execz .LBB2_607
; %bb.611:                              ;   in Loop: Header=BB2_610 Depth=2
	global_load_b32 v0, v[20:21], off offset:20 scope:SCOPE_SYS
	s_wait_loadcnt 0x0
	global_inv scope:SCOPE_SYS
	v_and_b32_e32 v0, 1, v0
	s_branch .LBB2_607
.LBB2_612:                              ;   in Loop: Header=BB2_431 Depth=1
	global_load_b64 v[20:21], v[6:7], off
	s_wait_xcnt 0x0
	s_and_saveexec_b32 s36, s2
	s_cbranch_execz .LBB2_616
; %bb.613:                              ;   in Loop: Header=BB2_431 Depth=1
	s_clause 0x2
	global_load_b64 v[6:7], v1, s[20:21] offset:40
	global_load_b64 v[24:25], v1, s[20:21] offset:24 scope:SCOPE_SYS
	global_load_b64 v[16:17], v1, s[20:21]
	s_wait_loadcnt 0x2
	v_readfirstlane_b32 s38, v6
	v_readfirstlane_b32 s39, v7
	s_add_nc_u64 s[2:3], s[38:39], 1
	s_delay_alu instid0(SALU_CYCLE_1) | instskip(NEXT) | instid1(SALU_CYCLE_1)
	s_add_nc_u64 s[34:35], s[2:3], s[34:35]
	s_cmp_eq_u64 s[34:35], 0
	s_cselect_b32 s3, s3, s35
	s_cselect_b32 s2, s2, s34
	s_delay_alu instid0(SALU_CYCLE_1) | instskip(SKIP_1) | instid1(SALU_CYCLE_1)
	v_dual_mov_b32 v23, s3 :: v_dual_mov_b32 v22, s2
	s_and_b64 s[34:35], s[2:3], s[38:39]
	s_mul_u64 s[34:35], s[34:35], 24
	s_wait_loadcnt 0x0
	v_add_nc_u64_e32 v[6:7], s[34:35], v[16:17]
	global_store_b64 v[6:7], v[24:25], off
	global_wb scope:SCOPE_SYS
	s_wait_storecnt 0x0
	s_wait_xcnt 0x0
	global_atomic_cmpswap_b64 v[18:19], v1, v[22:25], s[20:21] offset:24 th:TH_ATOMIC_RETURN scope:SCOPE_SYS
	s_wait_loadcnt 0x0
	v_cmp_ne_u64_e32 vcc_lo, v[18:19], v[24:25]
	s_and_b32 exec_lo, exec_lo, vcc_lo
	s_cbranch_execz .LBB2_616
; %bb.614:                              ;   in Loop: Header=BB2_431 Depth=1
	s_mov_b32 s34, 0
.LBB2_615:                              ;   Parent Loop BB2_431 Depth=1
                                        ; =>  This Inner Loop Header: Depth=2
	v_dual_mov_b32 v16, s2 :: v_dual_mov_b32 v17, s3
	s_sleep 1
	global_store_b64 v[6:7], v[18:19], off
	global_wb scope:SCOPE_SYS
	s_wait_storecnt 0x0
	s_wait_xcnt 0x0
	global_atomic_cmpswap_b64 v[16:17], v1, v[16:19], s[20:21] offset:24 th:TH_ATOMIC_RETURN scope:SCOPE_SYS
	s_wait_loadcnt 0x0
	v_cmp_eq_u64_e32 vcc_lo, v[16:17], v[18:19]
	v_mov_b64_e32 v[18:19], v[16:17]
	s_or_b32 s34, vcc_lo, s34
	s_delay_alu instid0(SALU_CYCLE_1)
	s_and_not1_b32 exec_lo, exec_lo, s34
	s_cbranch_execnz .LBB2_615
.LBB2_616:                              ;   in Loop: Header=BB2_431 Depth=1
	s_or_b32 exec_lo, exec_lo, s36
	s_delay_alu instid0(SALU_CYCLE_1)
	s_and_b32 vcc_lo, exec_lo, s44
	s_cbranch_vccz .LBB2_695
; %bb.617:                              ;   in Loop: Header=BB2_431 Depth=1
	s_wait_loadcnt 0x0
	v_dual_mov_b32 v17, v21 :: v_dual_bitop2_b32 v6, 2, v20 bitop3:0x40
	v_and_b32_e32 v16, -3, v20
	s_mov_b64 s[34:35], 6
	s_mov_b64 s[36:37], s[28:29]
	s_branch .LBB2_619
.LBB2_618:                              ;   in Loop: Header=BB2_619 Depth=2
	s_or_b32 exec_lo, exec_lo, s42
	s_sub_nc_u64 s[34:35], s[34:35], s[38:39]
	s_add_nc_u64 s[36:37], s[36:37], s[38:39]
	s_cmp_lg_u64 s[34:35], 0
	s_cbranch_scc0 .LBB2_694
.LBB2_619:                              ;   Parent Loop BB2_431 Depth=1
                                        ; =>  This Loop Header: Depth=2
                                        ;       Child Loop BB2_622 Depth 3
                                        ;       Child Loop BB2_629 Depth 3
	;; [unrolled: 1-line block ×11, first 2 shown]
	v_min_u64 v[18:19], s[34:35], 56
	v_cmp_gt_u64_e64 s2, s[34:35], 7
	s_and_b32 vcc_lo, exec_lo, s2
	v_readfirstlane_b32 s38, v18
	v_readfirstlane_b32 s39, v19
	s_cbranch_vccnz .LBB2_624
; %bb.620:                              ;   in Loop: Header=BB2_619 Depth=2
	v_mov_b64_e32 v[18:19], 0
	s_cmp_eq_u64 s[34:35], 0
	s_cbranch_scc1 .LBB2_623
; %bb.621:                              ;   in Loop: Header=BB2_619 Depth=2
	s_mov_b64 s[2:3], 0
	s_mov_b64 s[40:41], 0
.LBB2_622:                              ;   Parent Loop BB2_431 Depth=1
                                        ;     Parent Loop BB2_619 Depth=2
                                        ; =>    This Inner Loop Header: Depth=3
	s_wait_xcnt 0x0
	s_add_nc_u64 s[42:43], s[36:37], s[40:41]
	s_add_nc_u64 s[40:41], s[40:41], 1
	global_load_u8 v0, v1, s[42:43]
	s_cmp_lg_u32 s38, s40
	s_wait_loadcnt 0x0
	v_and_b32_e32 v0, 0xffff, v0
	s_delay_alu instid0(VALU_DEP_1) | instskip(SKIP_1) | instid1(VALU_DEP_1)
	v_lshlrev_b64_e32 v[22:23], s2, v[0:1]
	s_add_nc_u64 s[2:3], s[2:3], 8
	v_or_b32_e32 v18, v22, v18
	s_delay_alu instid0(VALU_DEP_2)
	v_or_b32_e32 v19, v23, v19
	s_cbranch_scc1 .LBB2_622
.LBB2_623:                              ;   in Loop: Header=BB2_619 Depth=2
	s_mov_b64 s[2:3], s[36:37]
	s_mov_b32 s48, 0
	s_cbranch_execz .LBB2_625
	s_branch .LBB2_626
.LBB2_624:                              ;   in Loop: Header=BB2_619 Depth=2
	s_add_nc_u64 s[2:3], s[36:37], 8
	s_mov_b32 s48, 0
.LBB2_625:                              ;   in Loop: Header=BB2_619 Depth=2
	global_load_b64 v[18:19], v1, s[36:37]
	s_add_co_i32 s48, s38, -8
.LBB2_626:                              ;   in Loop: Header=BB2_619 Depth=2
	s_delay_alu instid0(SALU_CYCLE_1)
	s_cmp_gt_u32 s48, 7
	s_cbranch_scc1 .LBB2_631
; %bb.627:                              ;   in Loop: Header=BB2_619 Depth=2
	v_mov_b64_e32 v[22:23], 0
	s_cmp_eq_u32 s48, 0
	s_cbranch_scc1 .LBB2_630
; %bb.628:                              ;   in Loop: Header=BB2_619 Depth=2
	s_mov_b64 s[40:41], 0
	s_wait_xcnt 0x0
	s_mov_b64 s[42:43], 0
.LBB2_629:                              ;   Parent Loop BB2_431 Depth=1
                                        ;     Parent Loop BB2_619 Depth=2
                                        ; =>    This Inner Loop Header: Depth=3
	s_wait_xcnt 0x0
	s_add_nc_u64 s[50:51], s[2:3], s[42:43]
	s_add_nc_u64 s[42:43], s[42:43], 1
	global_load_u8 v0, v1, s[50:51]
	s_cmp_lg_u32 s48, s42
	s_wait_loadcnt 0x0
	v_and_b32_e32 v0, 0xffff, v0
	s_delay_alu instid0(VALU_DEP_1) | instskip(SKIP_1) | instid1(VALU_DEP_1)
	v_lshlrev_b64_e32 v[24:25], s40, v[0:1]
	s_add_nc_u64 s[40:41], s[40:41], 8
	v_or_b32_e32 v22, v24, v22
	s_delay_alu instid0(VALU_DEP_2)
	v_or_b32_e32 v23, v25, v23
	s_cbranch_scc1 .LBB2_629
.LBB2_630:                              ;   in Loop: Header=BB2_619 Depth=2
	s_wait_xcnt 0x0
	s_mov_b64 s[40:41], s[2:3]
	s_mov_b32 s49, 0
	s_cbranch_execz .LBB2_632
	s_branch .LBB2_633
.LBB2_631:                              ;   in Loop: Header=BB2_619 Depth=2
	s_add_nc_u64 s[40:41], s[2:3], 8
	s_wait_xcnt 0x0
                                        ; implicit-def: $vgpr22_vgpr23
	s_mov_b32 s49, 0
.LBB2_632:                              ;   in Loop: Header=BB2_619 Depth=2
	global_load_b64 v[22:23], v1, s[2:3]
	s_add_co_i32 s49, s48, -8
.LBB2_633:                              ;   in Loop: Header=BB2_619 Depth=2
	s_delay_alu instid0(SALU_CYCLE_1)
	s_cmp_gt_u32 s49, 7
	s_cbranch_scc1 .LBB2_638
; %bb.634:                              ;   in Loop: Header=BB2_619 Depth=2
	v_mov_b64_e32 v[24:25], 0
	s_cmp_eq_u32 s49, 0
	s_cbranch_scc1 .LBB2_637
; %bb.635:                              ;   in Loop: Header=BB2_619 Depth=2
	s_wait_xcnt 0x0
	s_mov_b64 s[2:3], 0
	s_mov_b64 s[42:43], 0
.LBB2_636:                              ;   Parent Loop BB2_431 Depth=1
                                        ;     Parent Loop BB2_619 Depth=2
                                        ; =>    This Inner Loop Header: Depth=3
	s_wait_xcnt 0x0
	s_add_nc_u64 s[50:51], s[40:41], s[42:43]
	s_add_nc_u64 s[42:43], s[42:43], 1
	global_load_u8 v0, v1, s[50:51]
	s_cmp_lg_u32 s49, s42
	s_wait_loadcnt 0x0
	v_and_b32_e32 v0, 0xffff, v0
	s_delay_alu instid0(VALU_DEP_1) | instskip(SKIP_1) | instid1(VALU_DEP_1)
	v_lshlrev_b64_e32 v[26:27], s2, v[0:1]
	s_add_nc_u64 s[2:3], s[2:3], 8
	v_or_b32_e32 v24, v26, v24
	s_delay_alu instid0(VALU_DEP_2)
	v_or_b32_e32 v25, v27, v25
	s_cbranch_scc1 .LBB2_636
.LBB2_637:                              ;   in Loop: Header=BB2_619 Depth=2
	s_wait_xcnt 0x0
	s_mov_b64 s[2:3], s[40:41]
	s_mov_b32 s48, 0
	s_cbranch_execz .LBB2_639
	s_branch .LBB2_640
.LBB2_638:                              ;   in Loop: Header=BB2_619 Depth=2
	s_wait_xcnt 0x0
	s_add_nc_u64 s[2:3], s[40:41], 8
	s_mov_b32 s48, 0
.LBB2_639:                              ;   in Loop: Header=BB2_619 Depth=2
	global_load_b64 v[24:25], v1, s[40:41]
	s_add_co_i32 s48, s49, -8
.LBB2_640:                              ;   in Loop: Header=BB2_619 Depth=2
	s_delay_alu instid0(SALU_CYCLE_1)
	s_cmp_gt_u32 s48, 7
	s_cbranch_scc1 .LBB2_645
; %bb.641:                              ;   in Loop: Header=BB2_619 Depth=2
	v_mov_b64_e32 v[26:27], 0
	s_cmp_eq_u32 s48, 0
	s_cbranch_scc1 .LBB2_644
; %bb.642:                              ;   in Loop: Header=BB2_619 Depth=2
	s_wait_xcnt 0x0
	s_mov_b64 s[40:41], 0
	s_mov_b64 s[42:43], 0
.LBB2_643:                              ;   Parent Loop BB2_431 Depth=1
                                        ;     Parent Loop BB2_619 Depth=2
                                        ; =>    This Inner Loop Header: Depth=3
	s_wait_xcnt 0x0
	s_add_nc_u64 s[50:51], s[2:3], s[42:43]
	s_add_nc_u64 s[42:43], s[42:43], 1
	global_load_u8 v0, v1, s[50:51]
	s_cmp_lg_u32 s48, s42
	s_wait_loadcnt 0x0
	v_and_b32_e32 v0, 0xffff, v0
	s_delay_alu instid0(VALU_DEP_1) | instskip(SKIP_1) | instid1(VALU_DEP_1)
	v_lshlrev_b64_e32 v[28:29], s40, v[0:1]
	s_add_nc_u64 s[40:41], s[40:41], 8
	v_or_b32_e32 v26, v28, v26
	s_delay_alu instid0(VALU_DEP_2)
	v_or_b32_e32 v27, v29, v27
	s_cbranch_scc1 .LBB2_643
.LBB2_644:                              ;   in Loop: Header=BB2_619 Depth=2
	s_wait_xcnt 0x0
	s_mov_b64 s[40:41], s[2:3]
	s_mov_b32 s49, 0
	s_cbranch_execz .LBB2_646
	s_branch .LBB2_647
.LBB2_645:                              ;   in Loop: Header=BB2_619 Depth=2
	s_wait_xcnt 0x0
	s_add_nc_u64 s[40:41], s[2:3], 8
                                        ; implicit-def: $vgpr26_vgpr27
	s_mov_b32 s49, 0
.LBB2_646:                              ;   in Loop: Header=BB2_619 Depth=2
	global_load_b64 v[26:27], v1, s[2:3]
	s_add_co_i32 s49, s48, -8
.LBB2_647:                              ;   in Loop: Header=BB2_619 Depth=2
	s_delay_alu instid0(SALU_CYCLE_1)
	s_cmp_gt_u32 s49, 7
	s_cbranch_scc1 .LBB2_652
; %bb.648:                              ;   in Loop: Header=BB2_619 Depth=2
	v_mov_b64_e32 v[28:29], 0
	s_cmp_eq_u32 s49, 0
	s_cbranch_scc1 .LBB2_651
; %bb.649:                              ;   in Loop: Header=BB2_619 Depth=2
	s_wait_xcnt 0x0
	s_mov_b64 s[2:3], 0
	s_mov_b64 s[42:43], 0
.LBB2_650:                              ;   Parent Loop BB2_431 Depth=1
                                        ;     Parent Loop BB2_619 Depth=2
                                        ; =>    This Inner Loop Header: Depth=3
	s_wait_xcnt 0x0
	s_add_nc_u64 s[50:51], s[40:41], s[42:43]
	s_add_nc_u64 s[42:43], s[42:43], 1
	global_load_u8 v0, v1, s[50:51]
	s_cmp_lg_u32 s49, s42
	s_wait_loadcnt 0x0
	v_and_b32_e32 v0, 0xffff, v0
	s_delay_alu instid0(VALU_DEP_1) | instskip(SKIP_1) | instid1(VALU_DEP_1)
	v_lshlrev_b64_e32 v[30:31], s2, v[0:1]
	s_add_nc_u64 s[2:3], s[2:3], 8
	v_or_b32_e32 v28, v30, v28
	s_delay_alu instid0(VALU_DEP_2)
	v_or_b32_e32 v29, v31, v29
	s_cbranch_scc1 .LBB2_650
.LBB2_651:                              ;   in Loop: Header=BB2_619 Depth=2
	s_wait_xcnt 0x0
	s_mov_b64 s[2:3], s[40:41]
	s_mov_b32 s48, 0
	s_cbranch_execz .LBB2_653
	s_branch .LBB2_654
.LBB2_652:                              ;   in Loop: Header=BB2_619 Depth=2
	s_wait_xcnt 0x0
	s_add_nc_u64 s[2:3], s[40:41], 8
	s_mov_b32 s48, 0
.LBB2_653:                              ;   in Loop: Header=BB2_619 Depth=2
	global_load_b64 v[28:29], v1, s[40:41]
	s_add_co_i32 s48, s49, -8
.LBB2_654:                              ;   in Loop: Header=BB2_619 Depth=2
	s_delay_alu instid0(SALU_CYCLE_1)
	s_cmp_gt_u32 s48, 7
	s_cbranch_scc1 .LBB2_659
; %bb.655:                              ;   in Loop: Header=BB2_619 Depth=2
	v_mov_b64_e32 v[30:31], 0
	s_cmp_eq_u32 s48, 0
	s_cbranch_scc1 .LBB2_658
; %bb.656:                              ;   in Loop: Header=BB2_619 Depth=2
	s_wait_xcnt 0x0
	s_mov_b64 s[40:41], 0
	s_mov_b64 s[42:43], 0
.LBB2_657:                              ;   Parent Loop BB2_431 Depth=1
                                        ;     Parent Loop BB2_619 Depth=2
                                        ; =>    This Inner Loop Header: Depth=3
	s_wait_xcnt 0x0
	s_add_nc_u64 s[50:51], s[2:3], s[42:43]
	s_add_nc_u64 s[42:43], s[42:43], 1
	global_load_u8 v0, v1, s[50:51]
	s_cmp_lg_u32 s48, s42
	s_wait_loadcnt 0x0
	v_and_b32_e32 v0, 0xffff, v0
	s_delay_alu instid0(VALU_DEP_1) | instskip(SKIP_1) | instid1(VALU_DEP_1)
	v_lshlrev_b64_e32 v[32:33], s40, v[0:1]
	s_add_nc_u64 s[40:41], s[40:41], 8
	v_or_b32_e32 v30, v32, v30
	s_delay_alu instid0(VALU_DEP_2)
	v_or_b32_e32 v31, v33, v31
	s_cbranch_scc1 .LBB2_657
.LBB2_658:                              ;   in Loop: Header=BB2_619 Depth=2
	s_wait_xcnt 0x0
	s_mov_b64 s[40:41], s[2:3]
	s_mov_b32 s49, 0
	s_cbranch_execz .LBB2_660
	s_branch .LBB2_661
.LBB2_659:                              ;   in Loop: Header=BB2_619 Depth=2
	s_wait_xcnt 0x0
	s_add_nc_u64 s[40:41], s[2:3], 8
                                        ; implicit-def: $vgpr30_vgpr31
	s_mov_b32 s49, 0
.LBB2_660:                              ;   in Loop: Header=BB2_619 Depth=2
	global_load_b64 v[30:31], v1, s[2:3]
	s_add_co_i32 s49, s48, -8
.LBB2_661:                              ;   in Loop: Header=BB2_619 Depth=2
	s_delay_alu instid0(SALU_CYCLE_1)
	s_cmp_gt_u32 s49, 7
	s_cbranch_scc1 .LBB2_666
; %bb.662:                              ;   in Loop: Header=BB2_619 Depth=2
	v_mov_b64_e32 v[32:33], 0
	s_cmp_eq_u32 s49, 0
	s_cbranch_scc1 .LBB2_665
; %bb.663:                              ;   in Loop: Header=BB2_619 Depth=2
	s_wait_xcnt 0x0
	s_mov_b64 s[2:3], 0
	s_mov_b64 s[42:43], s[40:41]
.LBB2_664:                              ;   Parent Loop BB2_431 Depth=1
                                        ;     Parent Loop BB2_619 Depth=2
                                        ; =>    This Inner Loop Header: Depth=3
	global_load_u8 v0, v1, s[42:43]
	s_add_co_i32 s49, s49, -1
	s_wait_xcnt 0x0
	s_add_nc_u64 s[42:43], s[42:43], 1
	s_cmp_lg_u32 s49, 0
	s_wait_loadcnt 0x0
	v_and_b32_e32 v0, 0xffff, v0
	s_delay_alu instid0(VALU_DEP_1) | instskip(SKIP_1) | instid1(VALU_DEP_1)
	v_lshlrev_b64_e32 v[34:35], s2, v[0:1]
	s_add_nc_u64 s[2:3], s[2:3], 8
	v_or_b32_e32 v32, v34, v32
	s_delay_alu instid0(VALU_DEP_2)
	v_or_b32_e32 v33, v35, v33
	s_cbranch_scc1 .LBB2_664
.LBB2_665:                              ;   in Loop: Header=BB2_619 Depth=2
	s_wait_xcnt 0x0
	s_cbranch_execz .LBB2_667
	s_branch .LBB2_668
.LBB2_666:                              ;   in Loop: Header=BB2_619 Depth=2
	s_wait_xcnt 0x0
.LBB2_667:                              ;   in Loop: Header=BB2_619 Depth=2
	global_load_b64 v[32:33], v1, s[40:41]
.LBB2_668:                              ;   in Loop: Header=BB2_619 Depth=2
	v_readfirstlane_b32 s2, v46
	v_mov_b64_e32 v[42:43], 0
	s_delay_alu instid0(VALU_DEP_2)
	v_cmp_eq_u32_e64 s2, s2, v46
	s_wait_xcnt 0x0
	s_and_saveexec_b32 s3, s2
	s_cbranch_execz .LBB2_674
; %bb.669:                              ;   in Loop: Header=BB2_619 Depth=2
	global_load_b64 v[36:37], v1, s[20:21] offset:24 scope:SCOPE_SYS
	s_wait_loadcnt 0x0
	global_inv scope:SCOPE_SYS
	s_clause 0x1
	global_load_b64 v[34:35], v1, s[20:21] offset:40
	global_load_b64 v[42:43], v1, s[20:21]
	s_mov_b32 s40, exec_lo
	s_wait_loadcnt 0x1
	v_and_b32_e32 v34, v34, v36
	v_and_b32_e32 v35, v35, v37
	s_delay_alu instid0(VALU_DEP_1) | instskip(SKIP_1) | instid1(VALU_DEP_1)
	v_mul_u64_e32 v[34:35], 24, v[34:35]
	s_wait_loadcnt 0x0
	v_add_nc_u64_e32 v[34:35], v[42:43], v[34:35]
	global_load_b64 v[34:35], v[34:35], off scope:SCOPE_SYS
	s_wait_xcnt 0x0
	s_wait_loadcnt 0x0
	global_atomic_cmpswap_b64 v[42:43], v1, v[34:37], s[20:21] offset:24 th:TH_ATOMIC_RETURN scope:SCOPE_SYS
	s_wait_loadcnt 0x0
	global_inv scope:SCOPE_SYS
	s_wait_xcnt 0x0
	v_cmpx_ne_u64_e64 v[42:43], v[36:37]
	s_cbranch_execz .LBB2_673
; %bb.670:                              ;   in Loop: Header=BB2_619 Depth=2
	s_mov_b32 s41, 0
.LBB2_671:                              ;   Parent Loop BB2_431 Depth=1
                                        ;     Parent Loop BB2_619 Depth=2
                                        ; =>    This Inner Loop Header: Depth=3
	s_sleep 1
	s_clause 0x1
	global_load_b64 v[34:35], v1, s[20:21] offset:40
	global_load_b64 v[44:45], v1, s[20:21]
	v_mov_b64_e32 v[36:37], v[42:43]
	s_wait_loadcnt 0x1
	s_delay_alu instid0(VALU_DEP_1) | instskip(SKIP_1) | instid1(VALU_DEP_1)
	v_and_b32_e32 v0, v34, v36
	s_wait_loadcnt 0x0
	v_mad_nc_u64_u32 v[42:43], v0, 24, v[44:45]
	s_delay_alu instid0(VALU_DEP_3) | instskip(NEXT) | instid1(VALU_DEP_1)
	v_and_b32_e32 v0, v35, v37
	v_mad_u32 v43, v0, 24, v43
	global_load_b64 v[34:35], v[42:43], off scope:SCOPE_SYS
	s_wait_xcnt 0x0
	s_wait_loadcnt 0x0
	global_atomic_cmpswap_b64 v[42:43], v1, v[34:37], s[20:21] offset:24 th:TH_ATOMIC_RETURN scope:SCOPE_SYS
	s_wait_loadcnt 0x0
	global_inv scope:SCOPE_SYS
	v_cmp_eq_u64_e32 vcc_lo, v[42:43], v[36:37]
	s_or_b32 s41, vcc_lo, s41
	s_wait_xcnt 0x0
	s_and_not1_b32 exec_lo, exec_lo, s41
	s_cbranch_execnz .LBB2_671
; %bb.672:                              ;   in Loop: Header=BB2_619 Depth=2
	s_or_b32 exec_lo, exec_lo, s41
.LBB2_673:                              ;   in Loop: Header=BB2_619 Depth=2
	s_delay_alu instid0(SALU_CYCLE_1)
	s_or_b32 exec_lo, exec_lo, s40
.LBB2_674:                              ;   in Loop: Header=BB2_619 Depth=2
	s_delay_alu instid0(SALU_CYCLE_1)
	s_or_b32 exec_lo, exec_lo, s3
	s_clause 0x1
	global_load_b64 v[44:45], v1, s[20:21] offset:40
	global_load_b128 v[34:37], v1, s[20:21]
	v_readfirstlane_b32 s40, v42
	v_readfirstlane_b32 s41, v43
	s_mov_b32 s3, exec_lo
	s_wait_loadcnt 0x1
	v_and_b32_e32 v44, s40, v44
	v_and_b32_e32 v45, s41, v45
	s_delay_alu instid0(VALU_DEP_1) | instskip(SKIP_1) | instid1(VALU_DEP_1)
	v_mul_u64_e32 v[42:43], 24, v[44:45]
	s_wait_loadcnt 0x0
	v_add_nc_u64_e32 v[42:43], v[34:35], v[42:43]
	s_wait_xcnt 0x0
	s_and_saveexec_b32 s42, s2
	s_cbranch_execz .LBB2_676
; %bb.675:                              ;   in Loop: Header=BB2_619 Depth=2
	v_mov_b32_e32 v0, s3
	global_store_b128 v[42:43], v[0:3], off offset:8
.LBB2_676:                              ;   in Loop: Header=BB2_619 Depth=2
	s_wait_xcnt 0x0
	s_or_b32 exec_lo, exec_lo, s42
	v_cmp_lt_u64_e64 vcc_lo, s[34:35], 57
	v_lshlrev_b64_e32 v[44:45], 12, v[44:45]
	v_and_b32_e32 v5, 0xffffff1f, v16
	s_lshl_b32 s3, s38, 2
	s_delay_alu instid0(SALU_CYCLE_1) | instskip(SKIP_1) | instid1(VALU_DEP_3)
	s_add_co_i32 s3, s3, 28
	v_cndmask_b32_e32 v0, 0, v6, vcc_lo
	v_add_nc_u64_e32 v[36:37], v[36:37], v[44:45]
	s_delay_alu instid0(VALU_DEP_2) | instskip(NEXT) | instid1(VALU_DEP_2)
	v_or_b32_e32 v0, v5, v0
	v_readfirstlane_b32 s42, v36
	s_delay_alu instid0(VALU_DEP_3) | instskip(NEXT) | instid1(VALU_DEP_3)
	v_readfirstlane_b32 s43, v37
	v_and_or_b32 v16, 0x1e0, s3, v0
	s_clause 0x3
	global_store_b128 v38, v[16:19], s[42:43]
	global_store_b128 v38, v[22:25], s[42:43] offset:16
	global_store_b128 v38, v[26:29], s[42:43] offset:32
	;; [unrolled: 1-line block ×3, first 2 shown]
	s_wait_xcnt 0x0
	s_and_saveexec_b32 s3, s2
	s_cbranch_execz .LBB2_684
; %bb.677:                              ;   in Loop: Header=BB2_619 Depth=2
	s_clause 0x1
	global_load_b64 v[26:27], v1, s[20:21] offset:32 scope:SCOPE_SYS
	global_load_b64 v[16:17], v1, s[20:21] offset:40
	s_mov_b32 s42, exec_lo
	v_dual_mov_b32 v24, s40 :: v_dual_mov_b32 v25, s41
	s_wait_loadcnt 0x0
	v_and_b32_e32 v17, s41, v17
	v_and_b32_e32 v16, s40, v16
	s_delay_alu instid0(VALU_DEP_1) | instskip(NEXT) | instid1(VALU_DEP_1)
	v_mul_u64_e32 v[16:17], 24, v[16:17]
	v_add_nc_u64_e32 v[22:23], v[34:35], v[16:17]
	global_store_b64 v[22:23], v[26:27], off
	global_wb scope:SCOPE_SYS
	s_wait_storecnt 0x0
	s_wait_xcnt 0x0
	global_atomic_cmpswap_b64 v[18:19], v1, v[24:27], s[20:21] offset:32 th:TH_ATOMIC_RETURN scope:SCOPE_SYS
	s_wait_loadcnt 0x0
	v_cmpx_ne_u64_e64 v[18:19], v[26:27]
	s_cbranch_execz .LBB2_680
; %bb.678:                              ;   in Loop: Header=BB2_619 Depth=2
	s_mov_b32 s43, 0
.LBB2_679:                              ;   Parent Loop BB2_431 Depth=1
                                        ;     Parent Loop BB2_619 Depth=2
                                        ; =>    This Inner Loop Header: Depth=3
	v_dual_mov_b32 v16, s40 :: v_dual_mov_b32 v17, s41
	s_sleep 1
	global_store_b64 v[22:23], v[18:19], off
	global_wb scope:SCOPE_SYS
	s_wait_storecnt 0x0
	s_wait_xcnt 0x0
	global_atomic_cmpswap_b64 v[16:17], v1, v[16:19], s[20:21] offset:32 th:TH_ATOMIC_RETURN scope:SCOPE_SYS
	s_wait_loadcnt 0x0
	v_cmp_eq_u64_e32 vcc_lo, v[16:17], v[18:19]
	v_mov_b64_e32 v[18:19], v[16:17]
	s_or_b32 s43, vcc_lo, s43
	s_delay_alu instid0(SALU_CYCLE_1)
	s_and_not1_b32 exec_lo, exec_lo, s43
	s_cbranch_execnz .LBB2_679
.LBB2_680:                              ;   in Loop: Header=BB2_619 Depth=2
	s_or_b32 exec_lo, exec_lo, s42
	global_load_b64 v[16:17], v1, s[20:21] offset:16
	s_mov_b32 s43, exec_lo
	s_mov_b32 s42, exec_lo
	v_mbcnt_lo_u32_b32 v0, s43, 0
	s_wait_xcnt 0x0
	s_delay_alu instid0(VALU_DEP_1)
	v_cmpx_eq_u32_e32 0, v0
	s_cbranch_execz .LBB2_682
; %bb.681:                              ;   in Loop: Header=BB2_619 Depth=2
	s_bcnt1_i32_b32 s43, s43
	s_delay_alu instid0(SALU_CYCLE_1)
	v_mov_b32_e32 v0, s43
	global_wb scope:SCOPE_SYS
	s_wait_loadcnt 0x0
	s_wait_storecnt 0x0
	global_atomic_add_u64 v[16:17], v[0:1], off offset:8 scope:SCOPE_SYS
.LBB2_682:                              ;   in Loop: Header=BB2_619 Depth=2
	s_wait_xcnt 0x0
	s_or_b32 exec_lo, exec_lo, s42
	s_wait_loadcnt 0x0
	global_load_b64 v[18:19], v[16:17], off offset:16
	s_wait_loadcnt 0x0
	v_cmp_eq_u64_e32 vcc_lo, 0, v[18:19]
	s_cbranch_vccnz .LBB2_684
; %bb.683:                              ;   in Loop: Header=BB2_619 Depth=2
	global_load_b32 v0, v[16:17], off offset:24
	s_wait_loadcnt 0x0
	v_readfirstlane_b32 s42, v0
	global_wb scope:SCOPE_SYS
	s_wait_storecnt 0x0
	s_wait_xcnt 0x0
	global_store_b64 v[18:19], v[0:1], off scope:SCOPE_SYS
	s_and_b32 m0, s42, 0xffffff
	s_sendmsg sendmsg(MSG_INTERRUPT)
.LBB2_684:                              ;   in Loop: Header=BB2_619 Depth=2
	s_wait_xcnt 0x0
	s_or_b32 exec_lo, exec_lo, s3
	v_mov_b32_e32 v39, v1
	s_delay_alu instid0(VALU_DEP_1)
	v_add_nc_u64_e32 v[16:17], v[36:37], v[38:39]
	s_branch .LBB2_688
.LBB2_685:                              ;   in Loop: Header=BB2_688 Depth=3
	s_wait_xcnt 0x0
	s_or_b32 exec_lo, exec_lo, s3
	s_delay_alu instid0(VALU_DEP_1)
	v_readfirstlane_b32 s3, v0
	s_cmp_eq_u32 s3, 0
	s_cbranch_scc1 .LBB2_687
; %bb.686:                              ;   in Loop: Header=BB2_688 Depth=3
	s_sleep 1
	s_cbranch_execnz .LBB2_688
	s_branch .LBB2_690
.LBB2_687:                              ;   in Loop: Header=BB2_619 Depth=2
	s_branch .LBB2_690
.LBB2_688:                              ;   Parent Loop BB2_431 Depth=1
                                        ;     Parent Loop BB2_619 Depth=2
                                        ; =>    This Inner Loop Header: Depth=3
	v_mov_b32_e32 v0, 1
	s_and_saveexec_b32 s3, s2
	s_cbranch_execz .LBB2_685
; %bb.689:                              ;   in Loop: Header=BB2_688 Depth=3
	global_load_b32 v0, v[42:43], off offset:20 scope:SCOPE_SYS
	s_wait_loadcnt 0x0
	global_inv scope:SCOPE_SYS
	v_and_b32_e32 v0, 1, v0
	s_branch .LBB2_685
.LBB2_690:                              ;   in Loop: Header=BB2_619 Depth=2
	global_load_b64 v[16:17], v[16:17], off
	s_wait_xcnt 0x0
	s_and_saveexec_b32 s42, s2
	s_cbranch_execz .LBB2_618
; %bb.691:                              ;   in Loop: Header=BB2_619 Depth=2
	s_clause 0x2
	global_load_b64 v[18:19], v1, s[20:21] offset:40
	global_load_b64 v[26:27], v1, s[20:21] offset:24 scope:SCOPE_SYS
	global_load_b64 v[22:23], v1, s[20:21]
	s_wait_loadcnt 0x2
	v_readfirstlane_b32 s48, v18
	v_readfirstlane_b32 s49, v19
	s_add_nc_u64 s[2:3], s[48:49], 1
	s_delay_alu instid0(SALU_CYCLE_1) | instskip(NEXT) | instid1(SALU_CYCLE_1)
	s_add_nc_u64 s[40:41], s[2:3], s[40:41]
	s_cmp_eq_u64 s[40:41], 0
	s_cselect_b32 s3, s3, s41
	s_cselect_b32 s2, s2, s40
	s_delay_alu instid0(SALU_CYCLE_1) | instskip(SKIP_1) | instid1(SALU_CYCLE_1)
	v_dual_mov_b32 v25, s3 :: v_dual_mov_b32 v24, s2
	s_and_b64 s[40:41], s[2:3], s[48:49]
	s_mul_u64 s[40:41], s[40:41], 24
	s_wait_loadcnt 0x0
	v_add_nc_u64_e32 v[18:19], s[40:41], v[22:23]
	global_store_b64 v[18:19], v[26:27], off
	global_wb scope:SCOPE_SYS
	s_wait_storecnt 0x0
	s_wait_xcnt 0x0
	global_atomic_cmpswap_b64 v[24:25], v1, v[24:27], s[20:21] offset:24 th:TH_ATOMIC_RETURN scope:SCOPE_SYS
	s_wait_loadcnt 0x0
	v_cmp_ne_u64_e32 vcc_lo, v[24:25], v[26:27]
	s_and_b32 exec_lo, exec_lo, vcc_lo
	s_cbranch_execz .LBB2_618
; %bb.692:                              ;   in Loop: Header=BB2_619 Depth=2
	s_mov_b32 s40, 0
.LBB2_693:                              ;   Parent Loop BB2_431 Depth=1
                                        ;     Parent Loop BB2_619 Depth=2
                                        ; =>    This Inner Loop Header: Depth=3
	v_dual_mov_b32 v22, s2 :: v_dual_mov_b32 v23, s3
	s_sleep 1
	global_store_b64 v[18:19], v[24:25], off
	global_wb scope:SCOPE_SYS
	s_wait_storecnt 0x0
	s_wait_xcnt 0x0
	global_atomic_cmpswap_b64 v[22:23], v1, v[22:25], s[20:21] offset:24 th:TH_ATOMIC_RETURN scope:SCOPE_SYS
	s_wait_loadcnt 0x0
	v_cmp_eq_u64_e32 vcc_lo, v[22:23], v[24:25]
	v_mov_b64_e32 v[24:25], v[22:23]
	s_or_b32 s40, vcc_lo, s40
	s_delay_alu instid0(SALU_CYCLE_1)
	s_and_not1_b32 exec_lo, exec_lo, s40
	s_cbranch_execnz .LBB2_693
	s_branch .LBB2_618
.LBB2_694:                              ;   in Loop: Header=BB2_431 Depth=1
	s_branch .LBB2_723
.LBB2_695:                              ;   in Loop: Header=BB2_431 Depth=1
                                        ; implicit-def: $vgpr16_vgpr17
	s_cbranch_execz .LBB2_723
; %bb.696:                              ;   in Loop: Header=BB2_431 Depth=1
	v_readfirstlane_b32 s2, v46
	v_mov_b64_e32 v[6:7], 0
	s_delay_alu instid0(VALU_DEP_2)
	v_cmp_eq_u32_e64 s2, s2, v46
	s_and_saveexec_b32 s3, s2
	s_cbranch_execz .LBB2_702
; %bb.697:                              ;   in Loop: Header=BB2_431 Depth=1
	global_load_b64 v[18:19], v1, s[20:21] offset:24 scope:SCOPE_SYS
	s_wait_loadcnt 0x0
	global_inv scope:SCOPE_SYS
	s_clause 0x1
	global_load_b64 v[6:7], v1, s[20:21] offset:40
	global_load_b64 v[16:17], v1, s[20:21]
	s_mov_b32 s34, exec_lo
	s_wait_loadcnt 0x1
	v_and_b32_e32 v6, v6, v18
	v_and_b32_e32 v7, v7, v19
	s_delay_alu instid0(VALU_DEP_1) | instskip(SKIP_1) | instid1(VALU_DEP_1)
	v_mul_u64_e32 v[6:7], 24, v[6:7]
	s_wait_loadcnt 0x0
	v_add_nc_u64_e32 v[6:7], v[16:17], v[6:7]
	global_load_b64 v[16:17], v[6:7], off scope:SCOPE_SYS
	s_wait_xcnt 0x0
	s_wait_loadcnt 0x0
	global_atomic_cmpswap_b64 v[6:7], v1, v[16:19], s[20:21] offset:24 th:TH_ATOMIC_RETURN scope:SCOPE_SYS
	s_wait_loadcnt 0x0
	global_inv scope:SCOPE_SYS
	s_wait_xcnt 0x0
	v_cmpx_ne_u64_e64 v[6:7], v[18:19]
	s_cbranch_execz .LBB2_701
; %bb.698:                              ;   in Loop: Header=BB2_431 Depth=1
	s_mov_b32 s35, 0
.LBB2_699:                              ;   Parent Loop BB2_431 Depth=1
                                        ; =>  This Inner Loop Header: Depth=2
	s_sleep 1
	s_clause 0x1
	global_load_b64 v[16:17], v1, s[20:21] offset:40
	global_load_b64 v[22:23], v1, s[20:21]
	v_mov_b64_e32 v[18:19], v[6:7]
	s_wait_loadcnt 0x1
	s_delay_alu instid0(VALU_DEP_1) | instskip(SKIP_1) | instid1(VALU_DEP_1)
	v_and_b32_e32 v0, v16, v18
	s_wait_loadcnt 0x0
	v_mad_nc_u64_u32 v[6:7], v0, 24, v[22:23]
	s_delay_alu instid0(VALU_DEP_3) | instskip(NEXT) | instid1(VALU_DEP_1)
	v_and_b32_e32 v0, v17, v19
	v_mad_u32 v7, v0, 24, v7
	global_load_b64 v[16:17], v[6:7], off scope:SCOPE_SYS
	s_wait_xcnt 0x0
	s_wait_loadcnt 0x0
	global_atomic_cmpswap_b64 v[6:7], v1, v[16:19], s[20:21] offset:24 th:TH_ATOMIC_RETURN scope:SCOPE_SYS
	s_wait_loadcnt 0x0
	global_inv scope:SCOPE_SYS
	v_cmp_eq_u64_e32 vcc_lo, v[6:7], v[18:19]
	s_or_b32 s35, vcc_lo, s35
	s_wait_xcnt 0x0
	s_and_not1_b32 exec_lo, exec_lo, s35
	s_cbranch_execnz .LBB2_699
; %bb.700:                              ;   in Loop: Header=BB2_431 Depth=1
	s_or_b32 exec_lo, exec_lo, s35
.LBB2_701:                              ;   in Loop: Header=BB2_431 Depth=1
	s_delay_alu instid0(SALU_CYCLE_1)
	s_or_b32 exec_lo, exec_lo, s34
.LBB2_702:                              ;   in Loop: Header=BB2_431 Depth=1
	s_delay_alu instid0(SALU_CYCLE_1)
	s_or_b32 exec_lo, exec_lo, s3
	global_load_b64 v[22:23], v1, s[20:21] offset:40
	s_wait_loadcnt 0x1
	global_load_b128 v[16:19], v1, s[20:21]
	v_readfirstlane_b32 s34, v6
	v_readfirstlane_b32 s35, v7
	s_mov_b32 s3, exec_lo
	s_wait_loadcnt 0x1
	v_and_b32_e32 v22, s34, v22
	v_and_b32_e32 v23, s35, v23
	s_delay_alu instid0(VALU_DEP_1) | instskip(SKIP_1) | instid1(VALU_DEP_1)
	v_mul_u64_e32 v[6:7], 24, v[22:23]
	s_wait_loadcnt 0x0
	v_add_nc_u64_e32 v[6:7], v[16:17], v[6:7]
	s_wait_xcnt 0x0
	s_and_saveexec_b32 s36, s2
	s_cbranch_execz .LBB2_704
; %bb.703:                              ;   in Loop: Header=BB2_431 Depth=1
	v_mov_b32_e32 v0, s3
	global_store_b128 v[6:7], v[0:3], off offset:8
.LBB2_704:                              ;   in Loop: Header=BB2_431 Depth=1
	s_wait_xcnt 0x0
	s_or_b32 exec_lo, exec_lo, s36
	v_lshlrev_b64_e32 v[22:23], 12, v[22:23]
	v_mov_b64_e32 v[28:29], s[10:11]
	v_mov_b64_e32 v[26:27], s[8:9]
	v_and_or_b32 v20, 0xffffff1f, v20, 32
	s_delay_alu instid0(VALU_DEP_4) | instskip(SKIP_1) | instid1(VALU_DEP_2)
	v_add_nc_u64_e32 v[24:25], v[18:19], v[22:23]
	v_dual_mov_b32 v22, v1 :: v_dual_mov_b32 v23, v1
	v_readfirstlane_b32 s36, v24
	s_delay_alu instid0(VALU_DEP_3)
	v_readfirstlane_b32 s37, v25
	s_clause 0x3
	global_store_b128 v38, v[20:23], s[36:37]
	global_store_b128 v38, v[26:29], s[36:37] offset:16
	global_store_b128 v38, v[26:29], s[36:37] offset:32
	;; [unrolled: 1-line block ×3, first 2 shown]
	s_wait_xcnt 0x0
	s_and_saveexec_b32 s3, s2
	s_cbranch_execz .LBB2_712
; %bb.705:                              ;   in Loop: Header=BB2_431 Depth=1
	s_clause 0x1
	global_load_b64 v[28:29], v1, s[20:21] offset:32 scope:SCOPE_SYS
	global_load_b64 v[18:19], v1, s[20:21] offset:40
	s_mov_b32 s36, exec_lo
	v_dual_mov_b32 v26, s34 :: v_dual_mov_b32 v27, s35
	s_wait_loadcnt 0x0
	v_and_b32_e32 v19, s35, v19
	v_and_b32_e32 v18, s34, v18
	s_delay_alu instid0(VALU_DEP_1) | instskip(NEXT) | instid1(VALU_DEP_1)
	v_mul_u64_e32 v[18:19], 24, v[18:19]
	v_add_nc_u64_e32 v[20:21], v[16:17], v[18:19]
	global_store_b64 v[20:21], v[28:29], off
	global_wb scope:SCOPE_SYS
	s_wait_storecnt 0x0
	s_wait_xcnt 0x0
	global_atomic_cmpswap_b64 v[18:19], v1, v[26:29], s[20:21] offset:32 th:TH_ATOMIC_RETURN scope:SCOPE_SYS
	s_wait_loadcnt 0x0
	v_cmpx_ne_u64_e64 v[18:19], v[28:29]
	s_cbranch_execz .LBB2_708
; %bb.706:                              ;   in Loop: Header=BB2_431 Depth=1
	s_mov_b32 s37, 0
.LBB2_707:                              ;   Parent Loop BB2_431 Depth=1
                                        ; =>  This Inner Loop Header: Depth=2
	v_dual_mov_b32 v16, s34 :: v_dual_mov_b32 v17, s35
	s_sleep 1
	global_store_b64 v[20:21], v[18:19], off
	global_wb scope:SCOPE_SYS
	s_wait_storecnt 0x0
	s_wait_xcnt 0x0
	global_atomic_cmpswap_b64 v[16:17], v1, v[16:19], s[20:21] offset:32 th:TH_ATOMIC_RETURN scope:SCOPE_SYS
	s_wait_loadcnt 0x0
	v_cmp_eq_u64_e32 vcc_lo, v[16:17], v[18:19]
	v_mov_b64_e32 v[18:19], v[16:17]
	s_or_b32 s37, vcc_lo, s37
	s_delay_alu instid0(SALU_CYCLE_1)
	s_and_not1_b32 exec_lo, exec_lo, s37
	s_cbranch_execnz .LBB2_707
.LBB2_708:                              ;   in Loop: Header=BB2_431 Depth=1
	s_or_b32 exec_lo, exec_lo, s36
	global_load_b64 v[16:17], v1, s[20:21] offset:16
	s_mov_b32 s37, exec_lo
	s_mov_b32 s36, exec_lo
	v_mbcnt_lo_u32_b32 v0, s37, 0
	s_wait_xcnt 0x0
	s_delay_alu instid0(VALU_DEP_1)
	v_cmpx_eq_u32_e32 0, v0
	s_cbranch_execz .LBB2_710
; %bb.709:                              ;   in Loop: Header=BB2_431 Depth=1
	s_bcnt1_i32_b32 s37, s37
	s_delay_alu instid0(SALU_CYCLE_1)
	v_mov_b32_e32 v0, s37
	global_wb scope:SCOPE_SYS
	s_wait_loadcnt 0x0
	s_wait_storecnt 0x0
	global_atomic_add_u64 v[16:17], v[0:1], off offset:8 scope:SCOPE_SYS
.LBB2_710:                              ;   in Loop: Header=BB2_431 Depth=1
	s_wait_xcnt 0x0
	s_or_b32 exec_lo, exec_lo, s36
	s_wait_loadcnt 0x0
	global_load_b64 v[18:19], v[16:17], off offset:16
	s_wait_loadcnt 0x0
	v_cmp_eq_u64_e32 vcc_lo, 0, v[18:19]
	s_cbranch_vccnz .LBB2_712
; %bb.711:                              ;   in Loop: Header=BB2_431 Depth=1
	global_load_b32 v0, v[16:17], off offset:24
	s_wait_loadcnt 0x0
	v_readfirstlane_b32 s36, v0
	global_wb scope:SCOPE_SYS
	s_wait_storecnt 0x0
	s_wait_xcnt 0x0
	global_store_b64 v[18:19], v[0:1], off scope:SCOPE_SYS
	s_and_b32 m0, s36, 0xffffff
	s_sendmsg sendmsg(MSG_INTERRUPT)
.LBB2_712:                              ;   in Loop: Header=BB2_431 Depth=1
	s_wait_xcnt 0x0
	s_or_b32 exec_lo, exec_lo, s3
	v_mov_b32_e32 v39, v1
	s_delay_alu instid0(VALU_DEP_1)
	v_add_nc_u64_e32 v[16:17], v[24:25], v[38:39]
	s_branch .LBB2_716
.LBB2_713:                              ;   in Loop: Header=BB2_716 Depth=2
	s_wait_xcnt 0x0
	s_or_b32 exec_lo, exec_lo, s3
	s_delay_alu instid0(VALU_DEP_1)
	v_readfirstlane_b32 s3, v0
	s_cmp_eq_u32 s3, 0
	s_cbranch_scc1 .LBB2_715
; %bb.714:                              ;   in Loop: Header=BB2_716 Depth=2
	s_sleep 1
	s_cbranch_execnz .LBB2_716
	s_branch .LBB2_718
.LBB2_715:                              ;   in Loop: Header=BB2_431 Depth=1
	s_branch .LBB2_718
.LBB2_716:                              ;   Parent Loop BB2_431 Depth=1
                                        ; =>  This Inner Loop Header: Depth=2
	v_mov_b32_e32 v0, 1
	s_and_saveexec_b32 s3, s2
	s_cbranch_execz .LBB2_713
; %bb.717:                              ;   in Loop: Header=BB2_716 Depth=2
	global_load_b32 v0, v[6:7], off offset:20 scope:SCOPE_SYS
	s_wait_loadcnt 0x0
	global_inv scope:SCOPE_SYS
	v_and_b32_e32 v0, 1, v0
	s_branch .LBB2_713
.LBB2_718:                              ;   in Loop: Header=BB2_431 Depth=1
	global_load_b64 v[16:17], v[16:17], off
	s_wait_xcnt 0x0
	s_and_saveexec_b32 s36, s2
	s_cbranch_execz .LBB2_722
; %bb.719:                              ;   in Loop: Header=BB2_431 Depth=1
	s_clause 0x2
	global_load_b64 v[6:7], v1, s[20:21] offset:40
	global_load_b64 v[22:23], v1, s[20:21] offset:24 scope:SCOPE_SYS
	global_load_b64 v[18:19], v1, s[20:21]
	s_wait_loadcnt 0x2
	v_readfirstlane_b32 s38, v6
	v_readfirstlane_b32 s39, v7
	s_add_nc_u64 s[2:3], s[38:39], 1
	s_delay_alu instid0(SALU_CYCLE_1) | instskip(NEXT) | instid1(SALU_CYCLE_1)
	s_add_nc_u64 s[34:35], s[2:3], s[34:35]
	s_cmp_eq_u64 s[34:35], 0
	s_cselect_b32 s3, s3, s35
	s_cselect_b32 s2, s2, s34
	s_delay_alu instid0(SALU_CYCLE_1) | instskip(SKIP_1) | instid1(SALU_CYCLE_1)
	v_dual_mov_b32 v21, s3 :: v_dual_mov_b32 v20, s2
	s_and_b64 s[34:35], s[2:3], s[38:39]
	s_mul_u64 s[34:35], s[34:35], 24
	s_wait_loadcnt 0x0
	v_add_nc_u64_e32 v[6:7], s[34:35], v[18:19]
	global_store_b64 v[6:7], v[22:23], off
	global_wb scope:SCOPE_SYS
	s_wait_storecnt 0x0
	s_wait_xcnt 0x0
	global_atomic_cmpswap_b64 v[20:21], v1, v[20:23], s[20:21] offset:24 th:TH_ATOMIC_RETURN scope:SCOPE_SYS
	s_wait_loadcnt 0x0
	v_cmp_ne_u64_e32 vcc_lo, v[20:21], v[22:23]
	s_and_b32 exec_lo, exec_lo, vcc_lo
	s_cbranch_execz .LBB2_722
; %bb.720:                              ;   in Loop: Header=BB2_431 Depth=1
	s_mov_b32 s34, 0
.LBB2_721:                              ;   Parent Loop BB2_431 Depth=1
                                        ; =>  This Inner Loop Header: Depth=2
	v_dual_mov_b32 v18, s2 :: v_dual_mov_b32 v19, s3
	s_sleep 1
	global_store_b64 v[6:7], v[20:21], off
	global_wb scope:SCOPE_SYS
	s_wait_storecnt 0x0
	s_wait_xcnt 0x0
	global_atomic_cmpswap_b64 v[18:19], v1, v[18:21], s[20:21] offset:24 th:TH_ATOMIC_RETURN scope:SCOPE_SYS
	s_wait_loadcnt 0x0
	v_cmp_eq_u64_e32 vcc_lo, v[18:19], v[20:21]
	v_mov_b64_e32 v[20:21], v[18:19]
	s_or_b32 s34, vcc_lo, s34
	s_delay_alu instid0(SALU_CYCLE_1)
	s_and_not1_b32 exec_lo, exec_lo, s34
	s_cbranch_execnz .LBB2_721
.LBB2_722:                              ;   in Loop: Header=BB2_431 Depth=1
	s_or_b32 exec_lo, exec_lo, s36
.LBB2_723:                              ;   in Loop: Header=BB2_431 Depth=1
	s_bitcmp0_b32 s47, 0
	s_mov_b64 s[36:37], 0
	s_cselect_b32 s35, s25, s23
	s_cselect_b32 s34, s24, s22
	s_delay_alu instid0(SALU_CYCLE_1)
	s_cmp_lg_u64 s[34:35], 0
	s_cselect_b32 s38, -1, 0
	s_cmp_eq_u64 s[34:35], 0
	s_cbranch_scc1 .LBB2_727
; %bb.724:                              ;   in Loop: Header=BB2_431 Depth=1
	s_add_nc_u64 s[2:3], s[34:35], -1
.LBB2_725:                              ;   Parent Loop BB2_431 Depth=1
                                        ; =>  This Inner Loop Header: Depth=2
	s_load_u8 s36, s[2:3], 0x1
	s_wait_xcnt 0x0
	s_add_nc_u64 s[2:3], s[2:3], 1
	s_wait_kmcnt 0x0
	s_cmp_lg_u32 s36, 0
	s_cbranch_scc1 .LBB2_725
; %bb.726:                              ;   in Loop: Header=BB2_431 Depth=1
	s_sub_nc_u64 s[2:3], s[2:3], s[34:35]
	s_delay_alu instid0(SALU_CYCLE_1)
	s_add_nc_u64 s[36:37], s[2:3], 1
.LBB2_727:                              ;   in Loop: Header=BB2_431 Depth=1
	s_and_b32 vcc_lo, exec_lo, s38
	s_cbranch_vccz .LBB2_806
; %bb.728:                              ;   in Loop: Header=BB2_431 Depth=1
	s_wait_loadcnt 0x0
	v_dual_mov_b32 v19, v17 :: v_dual_bitop2_b32 v6, 2, v16 bitop3:0x40
	v_and_b32_e32 v18, -3, v16
	s_branch .LBB2_730
.LBB2_729:                              ;   in Loop: Header=BB2_730 Depth=2
	s_or_b32 exec_lo, exec_lo, s42
	s_sub_nc_u64 s[36:37], s[36:37], s[38:39]
	s_add_nc_u64 s[34:35], s[34:35], s[38:39]
	s_cmp_lg_u64 s[36:37], 0
	s_cbranch_scc0 .LBB2_805
.LBB2_730:                              ;   Parent Loop BB2_431 Depth=1
                                        ; =>  This Loop Header: Depth=2
                                        ;       Child Loop BB2_733 Depth 3
                                        ;       Child Loop BB2_740 Depth 3
	;; [unrolled: 1-line block ×11, first 2 shown]
	v_min_u64 v[20:21], s[36:37], 56
	v_cmp_gt_u64_e64 s2, s[36:37], 7
	s_and_b32 vcc_lo, exec_lo, s2
	v_readfirstlane_b32 s38, v20
	v_readfirstlane_b32 s39, v21
	s_cbranch_vccnz .LBB2_735
; %bb.731:                              ;   in Loop: Header=BB2_730 Depth=2
	v_mov_b64_e32 v[20:21], 0
	s_cmp_eq_u64 s[36:37], 0
	s_cbranch_scc1 .LBB2_734
; %bb.732:                              ;   in Loop: Header=BB2_730 Depth=2
	s_mov_b64 s[2:3], 0
	s_mov_b64 s[40:41], 0
.LBB2_733:                              ;   Parent Loop BB2_431 Depth=1
                                        ;     Parent Loop BB2_730 Depth=2
                                        ; =>    This Inner Loop Header: Depth=3
	s_wait_xcnt 0x0
	s_add_nc_u64 s[42:43], s[34:35], s[40:41]
	s_add_nc_u64 s[40:41], s[40:41], 1
	global_load_u8 v0, v1, s[42:43]
	s_cmp_lg_u32 s38, s40
	s_wait_loadcnt 0x0
	v_and_b32_e32 v0, 0xffff, v0
	s_delay_alu instid0(VALU_DEP_1) | instskip(SKIP_1) | instid1(VALU_DEP_1)
	v_lshlrev_b64_e32 v[22:23], s2, v[0:1]
	s_add_nc_u64 s[2:3], s[2:3], 8
	v_or_b32_e32 v20, v22, v20
	s_delay_alu instid0(VALU_DEP_2)
	v_or_b32_e32 v21, v23, v21
	s_cbranch_scc1 .LBB2_733
.LBB2_734:                              ;   in Loop: Header=BB2_730 Depth=2
	s_mov_b64 s[2:3], s[34:35]
	s_mov_b32 s48, 0
	s_cbranch_execz .LBB2_736
	s_branch .LBB2_737
.LBB2_735:                              ;   in Loop: Header=BB2_730 Depth=2
	s_add_nc_u64 s[2:3], s[34:35], 8
	s_mov_b32 s48, 0
.LBB2_736:                              ;   in Loop: Header=BB2_730 Depth=2
	global_load_b64 v[20:21], v1, s[34:35]
	s_add_co_i32 s48, s38, -8
.LBB2_737:                              ;   in Loop: Header=BB2_730 Depth=2
	s_delay_alu instid0(SALU_CYCLE_1)
	s_cmp_gt_u32 s48, 7
	s_cbranch_scc1 .LBB2_742
; %bb.738:                              ;   in Loop: Header=BB2_730 Depth=2
	v_mov_b64_e32 v[22:23], 0
	s_cmp_eq_u32 s48, 0
	s_cbranch_scc1 .LBB2_741
; %bb.739:                              ;   in Loop: Header=BB2_730 Depth=2
	s_mov_b64 s[40:41], 0
	s_wait_xcnt 0x0
	s_mov_b64 s[42:43], 0
.LBB2_740:                              ;   Parent Loop BB2_431 Depth=1
                                        ;     Parent Loop BB2_730 Depth=2
                                        ; =>    This Inner Loop Header: Depth=3
	s_wait_xcnt 0x0
	s_add_nc_u64 s[50:51], s[2:3], s[42:43]
	s_add_nc_u64 s[42:43], s[42:43], 1
	global_load_u8 v0, v1, s[50:51]
	s_cmp_lg_u32 s48, s42
	s_wait_loadcnt 0x0
	v_and_b32_e32 v0, 0xffff, v0
	s_delay_alu instid0(VALU_DEP_1) | instskip(SKIP_1) | instid1(VALU_DEP_1)
	v_lshlrev_b64_e32 v[24:25], s40, v[0:1]
	s_add_nc_u64 s[40:41], s[40:41], 8
	v_or_b32_e32 v22, v24, v22
	s_delay_alu instid0(VALU_DEP_2)
	v_or_b32_e32 v23, v25, v23
	s_cbranch_scc1 .LBB2_740
.LBB2_741:                              ;   in Loop: Header=BB2_730 Depth=2
	s_wait_xcnt 0x0
	s_mov_b64 s[40:41], s[2:3]
	s_mov_b32 s49, 0
	s_cbranch_execz .LBB2_743
	s_branch .LBB2_744
.LBB2_742:                              ;   in Loop: Header=BB2_730 Depth=2
	s_add_nc_u64 s[40:41], s[2:3], 8
	s_wait_xcnt 0x0
                                        ; implicit-def: $vgpr22_vgpr23
	s_mov_b32 s49, 0
.LBB2_743:                              ;   in Loop: Header=BB2_730 Depth=2
	global_load_b64 v[22:23], v1, s[2:3]
	s_add_co_i32 s49, s48, -8
.LBB2_744:                              ;   in Loop: Header=BB2_730 Depth=2
	s_delay_alu instid0(SALU_CYCLE_1)
	s_cmp_gt_u32 s49, 7
	s_cbranch_scc1 .LBB2_749
; %bb.745:                              ;   in Loop: Header=BB2_730 Depth=2
	v_mov_b64_e32 v[24:25], 0
	s_cmp_eq_u32 s49, 0
	s_cbranch_scc1 .LBB2_748
; %bb.746:                              ;   in Loop: Header=BB2_730 Depth=2
	s_wait_xcnt 0x0
	s_mov_b64 s[2:3], 0
	s_mov_b64 s[42:43], 0
.LBB2_747:                              ;   Parent Loop BB2_431 Depth=1
                                        ;     Parent Loop BB2_730 Depth=2
                                        ; =>    This Inner Loop Header: Depth=3
	s_wait_xcnt 0x0
	s_add_nc_u64 s[50:51], s[40:41], s[42:43]
	s_add_nc_u64 s[42:43], s[42:43], 1
	global_load_u8 v0, v1, s[50:51]
	s_cmp_lg_u32 s49, s42
	s_wait_loadcnt 0x0
	v_and_b32_e32 v0, 0xffff, v0
	s_delay_alu instid0(VALU_DEP_1) | instskip(SKIP_1) | instid1(VALU_DEP_1)
	v_lshlrev_b64_e32 v[26:27], s2, v[0:1]
	s_add_nc_u64 s[2:3], s[2:3], 8
	v_or_b32_e32 v24, v26, v24
	s_delay_alu instid0(VALU_DEP_2)
	v_or_b32_e32 v25, v27, v25
	s_cbranch_scc1 .LBB2_747
.LBB2_748:                              ;   in Loop: Header=BB2_730 Depth=2
	s_wait_xcnt 0x0
	s_mov_b64 s[2:3], s[40:41]
	s_mov_b32 s48, 0
	s_cbranch_execz .LBB2_750
	s_branch .LBB2_751
.LBB2_749:                              ;   in Loop: Header=BB2_730 Depth=2
	s_wait_xcnt 0x0
	s_add_nc_u64 s[2:3], s[40:41], 8
	s_mov_b32 s48, 0
.LBB2_750:                              ;   in Loop: Header=BB2_730 Depth=2
	global_load_b64 v[24:25], v1, s[40:41]
	s_add_co_i32 s48, s49, -8
.LBB2_751:                              ;   in Loop: Header=BB2_730 Depth=2
	s_delay_alu instid0(SALU_CYCLE_1)
	s_cmp_gt_u32 s48, 7
	s_cbranch_scc1 .LBB2_756
; %bb.752:                              ;   in Loop: Header=BB2_730 Depth=2
	v_mov_b64_e32 v[26:27], 0
	s_cmp_eq_u32 s48, 0
	s_cbranch_scc1 .LBB2_755
; %bb.753:                              ;   in Loop: Header=BB2_730 Depth=2
	s_wait_xcnt 0x0
	s_mov_b64 s[40:41], 0
	s_mov_b64 s[42:43], 0
.LBB2_754:                              ;   Parent Loop BB2_431 Depth=1
                                        ;     Parent Loop BB2_730 Depth=2
                                        ; =>    This Inner Loop Header: Depth=3
	s_wait_xcnt 0x0
	s_add_nc_u64 s[50:51], s[2:3], s[42:43]
	s_add_nc_u64 s[42:43], s[42:43], 1
	global_load_u8 v0, v1, s[50:51]
	s_cmp_lg_u32 s48, s42
	s_wait_loadcnt 0x0
	v_and_b32_e32 v0, 0xffff, v0
	s_delay_alu instid0(VALU_DEP_1) | instskip(SKIP_1) | instid1(VALU_DEP_1)
	v_lshlrev_b64_e32 v[28:29], s40, v[0:1]
	s_add_nc_u64 s[40:41], s[40:41], 8
	v_or_b32_e32 v26, v28, v26
	s_delay_alu instid0(VALU_DEP_2)
	v_or_b32_e32 v27, v29, v27
	s_cbranch_scc1 .LBB2_754
.LBB2_755:                              ;   in Loop: Header=BB2_730 Depth=2
	s_wait_xcnt 0x0
	s_mov_b64 s[40:41], s[2:3]
	s_mov_b32 s49, 0
	s_cbranch_execz .LBB2_757
	s_branch .LBB2_758
.LBB2_756:                              ;   in Loop: Header=BB2_730 Depth=2
	s_wait_xcnt 0x0
	s_add_nc_u64 s[40:41], s[2:3], 8
                                        ; implicit-def: $vgpr26_vgpr27
	s_mov_b32 s49, 0
.LBB2_757:                              ;   in Loop: Header=BB2_730 Depth=2
	global_load_b64 v[26:27], v1, s[2:3]
	s_add_co_i32 s49, s48, -8
.LBB2_758:                              ;   in Loop: Header=BB2_730 Depth=2
	s_delay_alu instid0(SALU_CYCLE_1)
	s_cmp_gt_u32 s49, 7
	s_cbranch_scc1 .LBB2_763
; %bb.759:                              ;   in Loop: Header=BB2_730 Depth=2
	v_mov_b64_e32 v[28:29], 0
	s_cmp_eq_u32 s49, 0
	s_cbranch_scc1 .LBB2_762
; %bb.760:                              ;   in Loop: Header=BB2_730 Depth=2
	s_wait_xcnt 0x0
	s_mov_b64 s[2:3], 0
	s_mov_b64 s[42:43], 0
.LBB2_761:                              ;   Parent Loop BB2_431 Depth=1
                                        ;     Parent Loop BB2_730 Depth=2
                                        ; =>    This Inner Loop Header: Depth=3
	s_wait_xcnt 0x0
	s_add_nc_u64 s[50:51], s[40:41], s[42:43]
	s_add_nc_u64 s[42:43], s[42:43], 1
	global_load_u8 v0, v1, s[50:51]
	s_cmp_lg_u32 s49, s42
	s_wait_loadcnt 0x0
	v_and_b32_e32 v0, 0xffff, v0
	s_delay_alu instid0(VALU_DEP_1) | instskip(SKIP_1) | instid1(VALU_DEP_1)
	v_lshlrev_b64_e32 v[30:31], s2, v[0:1]
	s_add_nc_u64 s[2:3], s[2:3], 8
	v_or_b32_e32 v28, v30, v28
	s_delay_alu instid0(VALU_DEP_2)
	v_or_b32_e32 v29, v31, v29
	s_cbranch_scc1 .LBB2_761
.LBB2_762:                              ;   in Loop: Header=BB2_730 Depth=2
	s_wait_xcnt 0x0
	s_mov_b64 s[2:3], s[40:41]
	s_mov_b32 s48, 0
	s_cbranch_execz .LBB2_764
	s_branch .LBB2_765
.LBB2_763:                              ;   in Loop: Header=BB2_730 Depth=2
	s_wait_xcnt 0x0
	s_add_nc_u64 s[2:3], s[40:41], 8
	s_mov_b32 s48, 0
.LBB2_764:                              ;   in Loop: Header=BB2_730 Depth=2
	global_load_b64 v[28:29], v1, s[40:41]
	s_add_co_i32 s48, s49, -8
.LBB2_765:                              ;   in Loop: Header=BB2_730 Depth=2
	s_delay_alu instid0(SALU_CYCLE_1)
	s_cmp_gt_u32 s48, 7
	s_cbranch_scc1 .LBB2_770
; %bb.766:                              ;   in Loop: Header=BB2_730 Depth=2
	v_mov_b64_e32 v[30:31], 0
	s_cmp_eq_u32 s48, 0
	s_cbranch_scc1 .LBB2_769
; %bb.767:                              ;   in Loop: Header=BB2_730 Depth=2
	s_wait_xcnt 0x0
	s_mov_b64 s[40:41], 0
	s_mov_b64 s[42:43], 0
.LBB2_768:                              ;   Parent Loop BB2_431 Depth=1
                                        ;     Parent Loop BB2_730 Depth=2
                                        ; =>    This Inner Loop Header: Depth=3
	s_wait_xcnt 0x0
	s_add_nc_u64 s[50:51], s[2:3], s[42:43]
	s_add_nc_u64 s[42:43], s[42:43], 1
	global_load_u8 v0, v1, s[50:51]
	s_cmp_lg_u32 s48, s42
	s_wait_loadcnt 0x0
	v_and_b32_e32 v0, 0xffff, v0
	s_delay_alu instid0(VALU_DEP_1) | instskip(SKIP_1) | instid1(VALU_DEP_1)
	v_lshlrev_b64_e32 v[32:33], s40, v[0:1]
	s_add_nc_u64 s[40:41], s[40:41], 8
	v_or_b32_e32 v30, v32, v30
	s_delay_alu instid0(VALU_DEP_2)
	v_or_b32_e32 v31, v33, v31
	s_cbranch_scc1 .LBB2_768
.LBB2_769:                              ;   in Loop: Header=BB2_730 Depth=2
	s_wait_xcnt 0x0
	s_mov_b64 s[40:41], s[2:3]
	s_mov_b32 s49, 0
	s_cbranch_execz .LBB2_771
	s_branch .LBB2_772
.LBB2_770:                              ;   in Loop: Header=BB2_730 Depth=2
	s_wait_xcnt 0x0
	s_add_nc_u64 s[40:41], s[2:3], 8
                                        ; implicit-def: $vgpr30_vgpr31
	s_mov_b32 s49, 0
.LBB2_771:                              ;   in Loop: Header=BB2_730 Depth=2
	global_load_b64 v[30:31], v1, s[2:3]
	s_add_co_i32 s49, s48, -8
.LBB2_772:                              ;   in Loop: Header=BB2_730 Depth=2
	s_delay_alu instid0(SALU_CYCLE_1)
	s_cmp_gt_u32 s49, 7
	s_cbranch_scc1 .LBB2_777
; %bb.773:                              ;   in Loop: Header=BB2_730 Depth=2
	v_mov_b64_e32 v[32:33], 0
	s_cmp_eq_u32 s49, 0
	s_cbranch_scc1 .LBB2_776
; %bb.774:                              ;   in Loop: Header=BB2_730 Depth=2
	s_wait_xcnt 0x0
	s_mov_b64 s[2:3], 0
	s_mov_b64 s[42:43], s[40:41]
.LBB2_775:                              ;   Parent Loop BB2_431 Depth=1
                                        ;     Parent Loop BB2_730 Depth=2
                                        ; =>    This Inner Loop Header: Depth=3
	global_load_u8 v0, v1, s[42:43]
	s_add_co_i32 s49, s49, -1
	s_wait_xcnt 0x0
	s_add_nc_u64 s[42:43], s[42:43], 1
	s_cmp_lg_u32 s49, 0
	s_wait_loadcnt 0x0
	v_and_b32_e32 v0, 0xffff, v0
	s_delay_alu instid0(VALU_DEP_1) | instskip(SKIP_1) | instid1(VALU_DEP_1)
	v_lshlrev_b64_e32 v[34:35], s2, v[0:1]
	s_add_nc_u64 s[2:3], s[2:3], 8
	v_or_b32_e32 v32, v34, v32
	s_delay_alu instid0(VALU_DEP_2)
	v_or_b32_e32 v33, v35, v33
	s_cbranch_scc1 .LBB2_775
.LBB2_776:                              ;   in Loop: Header=BB2_730 Depth=2
	s_wait_xcnt 0x0
	s_cbranch_execz .LBB2_778
	s_branch .LBB2_779
.LBB2_777:                              ;   in Loop: Header=BB2_730 Depth=2
	s_wait_xcnt 0x0
.LBB2_778:                              ;   in Loop: Header=BB2_730 Depth=2
	global_load_b64 v[32:33], v1, s[40:41]
.LBB2_779:                              ;   in Loop: Header=BB2_730 Depth=2
	v_readfirstlane_b32 s2, v46
	v_mov_b64_e32 v[42:43], 0
	s_delay_alu instid0(VALU_DEP_2)
	v_cmp_eq_u32_e64 s2, s2, v46
	s_wait_xcnt 0x0
	s_and_saveexec_b32 s3, s2
	s_cbranch_execz .LBB2_785
; %bb.780:                              ;   in Loop: Header=BB2_730 Depth=2
	global_load_b64 v[36:37], v1, s[20:21] offset:24 scope:SCOPE_SYS
	s_wait_loadcnt 0x0
	global_inv scope:SCOPE_SYS
	s_clause 0x1
	global_load_b64 v[34:35], v1, s[20:21] offset:40
	global_load_b64 v[42:43], v1, s[20:21]
	s_mov_b32 s40, exec_lo
	s_wait_loadcnt 0x1
	v_and_b32_e32 v34, v34, v36
	v_and_b32_e32 v35, v35, v37
	s_delay_alu instid0(VALU_DEP_1) | instskip(SKIP_1) | instid1(VALU_DEP_1)
	v_mul_u64_e32 v[34:35], 24, v[34:35]
	s_wait_loadcnt 0x0
	v_add_nc_u64_e32 v[34:35], v[42:43], v[34:35]
	global_load_b64 v[34:35], v[34:35], off scope:SCOPE_SYS
	s_wait_xcnt 0x0
	s_wait_loadcnt 0x0
	global_atomic_cmpswap_b64 v[42:43], v1, v[34:37], s[20:21] offset:24 th:TH_ATOMIC_RETURN scope:SCOPE_SYS
	s_wait_loadcnt 0x0
	global_inv scope:SCOPE_SYS
	s_wait_xcnt 0x0
	v_cmpx_ne_u64_e64 v[42:43], v[36:37]
	s_cbranch_execz .LBB2_784
; %bb.781:                              ;   in Loop: Header=BB2_730 Depth=2
	s_mov_b32 s41, 0
.LBB2_782:                              ;   Parent Loop BB2_431 Depth=1
                                        ;     Parent Loop BB2_730 Depth=2
                                        ; =>    This Inner Loop Header: Depth=3
	s_sleep 1
	s_clause 0x1
	global_load_b64 v[34:35], v1, s[20:21] offset:40
	global_load_b64 v[44:45], v1, s[20:21]
	v_mov_b64_e32 v[36:37], v[42:43]
	s_wait_loadcnt 0x1
	s_delay_alu instid0(VALU_DEP_1) | instskip(SKIP_1) | instid1(VALU_DEP_1)
	v_and_b32_e32 v0, v34, v36
	s_wait_loadcnt 0x0
	v_mad_nc_u64_u32 v[42:43], v0, 24, v[44:45]
	s_delay_alu instid0(VALU_DEP_3) | instskip(NEXT) | instid1(VALU_DEP_1)
	v_and_b32_e32 v0, v35, v37
	v_mad_u32 v43, v0, 24, v43
	global_load_b64 v[34:35], v[42:43], off scope:SCOPE_SYS
	s_wait_xcnt 0x0
	s_wait_loadcnt 0x0
	global_atomic_cmpswap_b64 v[42:43], v1, v[34:37], s[20:21] offset:24 th:TH_ATOMIC_RETURN scope:SCOPE_SYS
	s_wait_loadcnt 0x0
	global_inv scope:SCOPE_SYS
	v_cmp_eq_u64_e32 vcc_lo, v[42:43], v[36:37]
	s_or_b32 s41, vcc_lo, s41
	s_wait_xcnt 0x0
	s_and_not1_b32 exec_lo, exec_lo, s41
	s_cbranch_execnz .LBB2_782
; %bb.783:                              ;   in Loop: Header=BB2_730 Depth=2
	s_or_b32 exec_lo, exec_lo, s41
.LBB2_784:                              ;   in Loop: Header=BB2_730 Depth=2
	s_delay_alu instid0(SALU_CYCLE_1)
	s_or_b32 exec_lo, exec_lo, s40
.LBB2_785:                              ;   in Loop: Header=BB2_730 Depth=2
	s_delay_alu instid0(SALU_CYCLE_1)
	s_or_b32 exec_lo, exec_lo, s3
	s_clause 0x1
	global_load_b64 v[44:45], v1, s[20:21] offset:40
	global_load_b128 v[34:37], v1, s[20:21]
	v_readfirstlane_b32 s40, v42
	v_readfirstlane_b32 s41, v43
	s_mov_b32 s3, exec_lo
	s_wait_loadcnt 0x1
	v_and_b32_e32 v44, s40, v44
	v_and_b32_e32 v45, s41, v45
	s_delay_alu instid0(VALU_DEP_1) | instskip(SKIP_1) | instid1(VALU_DEP_1)
	v_mul_u64_e32 v[42:43], 24, v[44:45]
	s_wait_loadcnt 0x0
	v_add_nc_u64_e32 v[42:43], v[34:35], v[42:43]
	s_wait_xcnt 0x0
	s_and_saveexec_b32 s42, s2
	s_cbranch_execz .LBB2_787
; %bb.786:                              ;   in Loop: Header=BB2_730 Depth=2
	v_mov_b32_e32 v0, s3
	global_store_b128 v[42:43], v[0:3], off offset:8
.LBB2_787:                              ;   in Loop: Header=BB2_730 Depth=2
	s_wait_xcnt 0x0
	s_or_b32 exec_lo, exec_lo, s42
	v_cmp_lt_u64_e64 vcc_lo, s[36:37], 57
	v_lshlrev_b64_e32 v[44:45], 12, v[44:45]
	v_and_b32_e32 v5, 0xffffff1f, v18
	s_lshl_b32 s3, s38, 2
	s_delay_alu instid0(SALU_CYCLE_1) | instskip(SKIP_1) | instid1(VALU_DEP_3)
	s_add_co_i32 s3, s3, 28
	v_cndmask_b32_e32 v0, 0, v6, vcc_lo
	v_add_nc_u64_e32 v[36:37], v[36:37], v[44:45]
	s_delay_alu instid0(VALU_DEP_2) | instskip(NEXT) | instid1(VALU_DEP_2)
	v_or_b32_e32 v0, v5, v0
	v_readfirstlane_b32 s42, v36
	s_delay_alu instid0(VALU_DEP_3) | instskip(NEXT) | instid1(VALU_DEP_3)
	v_readfirstlane_b32 s43, v37
	v_and_or_b32 v18, 0x1e0, s3, v0
	s_clause 0x3
	global_store_b128 v38, v[18:21], s[42:43]
	global_store_b128 v38, v[22:25], s[42:43] offset:16
	global_store_b128 v38, v[26:29], s[42:43] offset:32
	;; [unrolled: 1-line block ×3, first 2 shown]
	s_wait_xcnt 0x0
	s_and_saveexec_b32 s3, s2
	s_cbranch_execz .LBB2_795
; %bb.788:                              ;   in Loop: Header=BB2_730 Depth=2
	s_clause 0x1
	global_load_b64 v[26:27], v1, s[20:21] offset:32 scope:SCOPE_SYS
	global_load_b64 v[18:19], v1, s[20:21] offset:40
	s_mov_b32 s42, exec_lo
	v_dual_mov_b32 v24, s40 :: v_dual_mov_b32 v25, s41
	s_wait_loadcnt 0x0
	v_and_b32_e32 v19, s41, v19
	v_and_b32_e32 v18, s40, v18
	s_delay_alu instid0(VALU_DEP_1) | instskip(NEXT) | instid1(VALU_DEP_1)
	v_mul_u64_e32 v[18:19], 24, v[18:19]
	v_add_nc_u64_e32 v[22:23], v[34:35], v[18:19]
	global_store_b64 v[22:23], v[26:27], off
	global_wb scope:SCOPE_SYS
	s_wait_storecnt 0x0
	s_wait_xcnt 0x0
	global_atomic_cmpswap_b64 v[20:21], v1, v[24:27], s[20:21] offset:32 th:TH_ATOMIC_RETURN scope:SCOPE_SYS
	s_wait_loadcnt 0x0
	v_cmpx_ne_u64_e64 v[20:21], v[26:27]
	s_cbranch_execz .LBB2_791
; %bb.789:                              ;   in Loop: Header=BB2_730 Depth=2
	s_mov_b32 s43, 0
.LBB2_790:                              ;   Parent Loop BB2_431 Depth=1
                                        ;     Parent Loop BB2_730 Depth=2
                                        ; =>    This Inner Loop Header: Depth=3
	v_dual_mov_b32 v18, s40 :: v_dual_mov_b32 v19, s41
	s_sleep 1
	global_store_b64 v[22:23], v[20:21], off
	global_wb scope:SCOPE_SYS
	s_wait_storecnt 0x0
	s_wait_xcnt 0x0
	global_atomic_cmpswap_b64 v[18:19], v1, v[18:21], s[20:21] offset:32 th:TH_ATOMIC_RETURN scope:SCOPE_SYS
	s_wait_loadcnt 0x0
	v_cmp_eq_u64_e32 vcc_lo, v[18:19], v[20:21]
	v_mov_b64_e32 v[20:21], v[18:19]
	s_or_b32 s43, vcc_lo, s43
	s_delay_alu instid0(SALU_CYCLE_1)
	s_and_not1_b32 exec_lo, exec_lo, s43
	s_cbranch_execnz .LBB2_790
.LBB2_791:                              ;   in Loop: Header=BB2_730 Depth=2
	s_or_b32 exec_lo, exec_lo, s42
	global_load_b64 v[18:19], v1, s[20:21] offset:16
	s_mov_b32 s43, exec_lo
	s_mov_b32 s42, exec_lo
	v_mbcnt_lo_u32_b32 v0, s43, 0
	s_wait_xcnt 0x0
	s_delay_alu instid0(VALU_DEP_1)
	v_cmpx_eq_u32_e32 0, v0
	s_cbranch_execz .LBB2_793
; %bb.792:                              ;   in Loop: Header=BB2_730 Depth=2
	s_bcnt1_i32_b32 s43, s43
	s_delay_alu instid0(SALU_CYCLE_1)
	v_mov_b32_e32 v0, s43
	global_wb scope:SCOPE_SYS
	s_wait_loadcnt 0x0
	s_wait_storecnt 0x0
	global_atomic_add_u64 v[18:19], v[0:1], off offset:8 scope:SCOPE_SYS
.LBB2_793:                              ;   in Loop: Header=BB2_730 Depth=2
	s_wait_xcnt 0x0
	s_or_b32 exec_lo, exec_lo, s42
	s_wait_loadcnt 0x0
	global_load_b64 v[20:21], v[18:19], off offset:16
	s_wait_loadcnt 0x0
	v_cmp_eq_u64_e32 vcc_lo, 0, v[20:21]
	s_cbranch_vccnz .LBB2_795
; %bb.794:                              ;   in Loop: Header=BB2_730 Depth=2
	global_load_b32 v0, v[18:19], off offset:24
	s_wait_loadcnt 0x0
	v_readfirstlane_b32 s42, v0
	global_wb scope:SCOPE_SYS
	s_wait_storecnt 0x0
	s_wait_xcnt 0x0
	global_store_b64 v[20:21], v[0:1], off scope:SCOPE_SYS
	s_and_b32 m0, s42, 0xffffff
	s_sendmsg sendmsg(MSG_INTERRUPT)
.LBB2_795:                              ;   in Loop: Header=BB2_730 Depth=2
	s_wait_xcnt 0x0
	s_or_b32 exec_lo, exec_lo, s3
	v_mov_b32_e32 v39, v1
	s_delay_alu instid0(VALU_DEP_1)
	v_add_nc_u64_e32 v[18:19], v[36:37], v[38:39]
	s_branch .LBB2_799
.LBB2_796:                              ;   in Loop: Header=BB2_799 Depth=3
	s_wait_xcnt 0x0
	s_or_b32 exec_lo, exec_lo, s3
	s_delay_alu instid0(VALU_DEP_1)
	v_readfirstlane_b32 s3, v0
	s_cmp_eq_u32 s3, 0
	s_cbranch_scc1 .LBB2_798
; %bb.797:                              ;   in Loop: Header=BB2_799 Depth=3
	s_sleep 1
	s_cbranch_execnz .LBB2_799
	s_branch .LBB2_801
.LBB2_798:                              ;   in Loop: Header=BB2_730 Depth=2
	s_branch .LBB2_801
.LBB2_799:                              ;   Parent Loop BB2_431 Depth=1
                                        ;     Parent Loop BB2_730 Depth=2
                                        ; =>    This Inner Loop Header: Depth=3
	v_mov_b32_e32 v0, 1
	s_and_saveexec_b32 s3, s2
	s_cbranch_execz .LBB2_796
; %bb.800:                              ;   in Loop: Header=BB2_799 Depth=3
	global_load_b32 v0, v[42:43], off offset:20 scope:SCOPE_SYS
	s_wait_loadcnt 0x0
	global_inv scope:SCOPE_SYS
	v_and_b32_e32 v0, 1, v0
	s_branch .LBB2_796
.LBB2_801:                              ;   in Loop: Header=BB2_730 Depth=2
	global_load_b64 v[18:19], v[18:19], off
	s_wait_xcnt 0x0
	s_and_saveexec_b32 s42, s2
	s_cbranch_execz .LBB2_729
; %bb.802:                              ;   in Loop: Header=BB2_730 Depth=2
	s_clause 0x2
	global_load_b64 v[20:21], v1, s[20:21] offset:40
	global_load_b64 v[28:29], v1, s[20:21] offset:24 scope:SCOPE_SYS
	global_load_b64 v[22:23], v1, s[20:21]
	s_wait_loadcnt 0x2
	v_readfirstlane_b32 s48, v20
	v_readfirstlane_b32 s49, v21
	s_add_nc_u64 s[2:3], s[48:49], 1
	s_delay_alu instid0(SALU_CYCLE_1) | instskip(NEXT) | instid1(SALU_CYCLE_1)
	s_add_nc_u64 s[40:41], s[2:3], s[40:41]
	s_cmp_eq_u64 s[40:41], 0
	s_cselect_b32 s3, s3, s41
	s_cselect_b32 s2, s2, s40
	s_delay_alu instid0(SALU_CYCLE_1) | instskip(SKIP_1) | instid1(SALU_CYCLE_1)
	v_dual_mov_b32 v27, s3 :: v_dual_mov_b32 v26, s2
	s_and_b64 s[40:41], s[2:3], s[48:49]
	s_mul_u64 s[40:41], s[40:41], 24
	s_wait_loadcnt 0x0
	v_add_nc_u64_e32 v[24:25], s[40:41], v[22:23]
	global_store_b64 v[24:25], v[28:29], off
	global_wb scope:SCOPE_SYS
	s_wait_storecnt 0x0
	s_wait_xcnt 0x0
	global_atomic_cmpswap_b64 v[22:23], v1, v[26:29], s[20:21] offset:24 th:TH_ATOMIC_RETURN scope:SCOPE_SYS
	s_wait_loadcnt 0x0
	v_cmp_ne_u64_e32 vcc_lo, v[22:23], v[28:29]
	s_and_b32 exec_lo, exec_lo, vcc_lo
	s_cbranch_execz .LBB2_729
; %bb.803:                              ;   in Loop: Header=BB2_730 Depth=2
	s_mov_b32 s40, 0
.LBB2_804:                              ;   Parent Loop BB2_431 Depth=1
                                        ;     Parent Loop BB2_730 Depth=2
                                        ; =>    This Inner Loop Header: Depth=3
	v_dual_mov_b32 v20, s2 :: v_dual_mov_b32 v21, s3
	s_sleep 1
	global_store_b64 v[24:25], v[22:23], off
	global_wb scope:SCOPE_SYS
	s_wait_storecnt 0x0
	s_wait_xcnt 0x0
	global_atomic_cmpswap_b64 v[20:21], v1, v[20:23], s[20:21] offset:24 th:TH_ATOMIC_RETURN scope:SCOPE_SYS
	s_wait_loadcnt 0x0
	v_cmp_eq_u64_e32 vcc_lo, v[20:21], v[22:23]
	v_mov_b64_e32 v[22:23], v[20:21]
	s_or_b32 s40, vcc_lo, s40
	s_delay_alu instid0(SALU_CYCLE_1)
	s_and_not1_b32 exec_lo, exec_lo, s40
	s_cbranch_execnz .LBB2_804
	s_branch .LBB2_729
.LBB2_805:                              ;   in Loop: Header=BB2_431 Depth=1
	s_branch .LBB2_834
.LBB2_806:                              ;   in Loop: Header=BB2_431 Depth=1
                                        ; implicit-def: $vgpr18_vgpr19
	s_cbranch_execz .LBB2_834
; %bb.807:                              ;   in Loop: Header=BB2_431 Depth=1
	v_readfirstlane_b32 s2, v46
	v_mov_b64_e32 v[6:7], 0
	s_delay_alu instid0(VALU_DEP_2)
	v_cmp_eq_u32_e64 s2, s2, v46
	s_and_saveexec_b32 s3, s2
	s_cbranch_execz .LBB2_813
; %bb.808:                              ;   in Loop: Header=BB2_431 Depth=1
	s_wait_loadcnt 0x0
	global_load_b64 v[20:21], v1, s[20:21] offset:24 scope:SCOPE_SYS
	s_wait_loadcnt 0x0
	global_inv scope:SCOPE_SYS
	s_clause 0x1
	global_load_b64 v[6:7], v1, s[20:21] offset:40
	global_load_b64 v[18:19], v1, s[20:21]
	s_mov_b32 s34, exec_lo
	s_wait_loadcnt 0x1
	v_and_b32_e32 v6, v6, v20
	v_and_b32_e32 v7, v7, v21
	s_delay_alu instid0(VALU_DEP_1) | instskip(SKIP_1) | instid1(VALU_DEP_1)
	v_mul_u64_e32 v[6:7], 24, v[6:7]
	s_wait_loadcnt 0x0
	v_add_nc_u64_e32 v[6:7], v[18:19], v[6:7]
	global_load_b64 v[18:19], v[6:7], off scope:SCOPE_SYS
	s_wait_xcnt 0x0
	s_wait_loadcnt 0x0
	global_atomic_cmpswap_b64 v[6:7], v1, v[18:21], s[20:21] offset:24 th:TH_ATOMIC_RETURN scope:SCOPE_SYS
	s_wait_loadcnt 0x0
	global_inv scope:SCOPE_SYS
	s_wait_xcnt 0x0
	v_cmpx_ne_u64_e64 v[6:7], v[20:21]
	s_cbranch_execz .LBB2_812
; %bb.809:                              ;   in Loop: Header=BB2_431 Depth=1
	s_mov_b32 s35, 0
.LBB2_810:                              ;   Parent Loop BB2_431 Depth=1
                                        ; =>  This Inner Loop Header: Depth=2
	s_sleep 1
	s_clause 0x1
	global_load_b64 v[18:19], v1, s[20:21] offset:40
	global_load_b64 v[22:23], v1, s[20:21]
	v_mov_b64_e32 v[20:21], v[6:7]
	s_wait_loadcnt 0x1
	s_delay_alu instid0(VALU_DEP_1) | instskip(SKIP_1) | instid1(VALU_DEP_1)
	v_and_b32_e32 v0, v18, v20
	s_wait_loadcnt 0x0
	v_mad_nc_u64_u32 v[6:7], v0, 24, v[22:23]
	s_delay_alu instid0(VALU_DEP_3) | instskip(NEXT) | instid1(VALU_DEP_1)
	v_and_b32_e32 v0, v19, v21
	v_mad_u32 v7, v0, 24, v7
	global_load_b64 v[18:19], v[6:7], off scope:SCOPE_SYS
	s_wait_xcnt 0x0
	s_wait_loadcnt 0x0
	global_atomic_cmpswap_b64 v[6:7], v1, v[18:21], s[20:21] offset:24 th:TH_ATOMIC_RETURN scope:SCOPE_SYS
	s_wait_loadcnt 0x0
	global_inv scope:SCOPE_SYS
	v_cmp_eq_u64_e32 vcc_lo, v[6:7], v[20:21]
	s_or_b32 s35, vcc_lo, s35
	s_wait_xcnt 0x0
	s_and_not1_b32 exec_lo, exec_lo, s35
	s_cbranch_execnz .LBB2_810
; %bb.811:                              ;   in Loop: Header=BB2_431 Depth=1
	s_or_b32 exec_lo, exec_lo, s35
.LBB2_812:                              ;   in Loop: Header=BB2_431 Depth=1
	s_delay_alu instid0(SALU_CYCLE_1)
	s_or_b32 exec_lo, exec_lo, s34
.LBB2_813:                              ;   in Loop: Header=BB2_431 Depth=1
	s_delay_alu instid0(SALU_CYCLE_1)
	s_or_b32 exec_lo, exec_lo, s3
	s_wait_loadcnt 0x0
	s_clause 0x1
	global_load_b64 v[18:19], v1, s[20:21] offset:40
	global_load_b128 v[20:23], v1, s[20:21]
	v_readfirstlane_b32 s34, v6
	v_readfirstlane_b32 s35, v7
	s_mov_b32 s3, exec_lo
	s_wait_loadcnt 0x1
	v_and_b32_e32 v18, s34, v18
	v_and_b32_e32 v19, s35, v19
	s_delay_alu instid0(VALU_DEP_1) | instskip(SKIP_1) | instid1(VALU_DEP_1)
	v_mul_u64_e32 v[6:7], 24, v[18:19]
	s_wait_loadcnt 0x0
	v_add_nc_u64_e32 v[6:7], v[20:21], v[6:7]
	s_wait_xcnt 0x0
	s_and_saveexec_b32 s36, s2
	s_cbranch_execz .LBB2_815
; %bb.814:                              ;   in Loop: Header=BB2_431 Depth=1
	v_mov_b32_e32 v0, s3
	global_store_b128 v[6:7], v[0:3], off offset:8
.LBB2_815:                              ;   in Loop: Header=BB2_431 Depth=1
	s_wait_xcnt 0x0
	s_or_b32 exec_lo, exec_lo, s36
	v_lshlrev_b64_e32 v[18:19], 12, v[18:19]
	v_mov_b64_e32 v[26:27], s[10:11]
	v_mov_b64_e32 v[24:25], s[8:9]
	v_and_or_b32 v16, 0xffffff1f, v16, 32
	s_delay_alu instid0(VALU_DEP_4) | instskip(SKIP_1) | instid1(VALU_DEP_2)
	v_add_nc_u64_e32 v[22:23], v[22:23], v[18:19]
	v_dual_mov_b32 v18, v1 :: v_dual_mov_b32 v19, v1
	v_readfirstlane_b32 s36, v22
	s_delay_alu instid0(VALU_DEP_3)
	v_readfirstlane_b32 s37, v23
	s_clause 0x3
	global_store_b128 v38, v[16:19], s[36:37]
	global_store_b128 v38, v[24:27], s[36:37] offset:16
	global_store_b128 v38, v[24:27], s[36:37] offset:32
	;; [unrolled: 1-line block ×3, first 2 shown]
	s_wait_xcnt 0x0
	s_and_saveexec_b32 s3, s2
	s_cbranch_execz .LBB2_823
; %bb.816:                              ;   in Loop: Header=BB2_431 Depth=1
	s_clause 0x1
	global_load_b64 v[26:27], v1, s[20:21] offset:32 scope:SCOPE_SYS
	global_load_b64 v[16:17], v1, s[20:21] offset:40
	s_mov_b32 s36, exec_lo
	v_dual_mov_b32 v24, s34 :: v_dual_mov_b32 v25, s35
	s_wait_loadcnt 0x0
	v_and_b32_e32 v17, s35, v17
	v_and_b32_e32 v16, s34, v16
	s_delay_alu instid0(VALU_DEP_1) | instskip(NEXT) | instid1(VALU_DEP_1)
	v_mul_u64_e32 v[16:17], 24, v[16:17]
	v_add_nc_u64_e32 v[20:21], v[20:21], v[16:17]
	global_store_b64 v[20:21], v[26:27], off
	global_wb scope:SCOPE_SYS
	s_wait_storecnt 0x0
	s_wait_xcnt 0x0
	global_atomic_cmpswap_b64 v[18:19], v1, v[24:27], s[20:21] offset:32 th:TH_ATOMIC_RETURN scope:SCOPE_SYS
	s_wait_loadcnt 0x0
	v_cmpx_ne_u64_e64 v[18:19], v[26:27]
	s_cbranch_execz .LBB2_819
; %bb.817:                              ;   in Loop: Header=BB2_431 Depth=1
	s_mov_b32 s37, 0
.LBB2_818:                              ;   Parent Loop BB2_431 Depth=1
                                        ; =>  This Inner Loop Header: Depth=2
	v_dual_mov_b32 v16, s34 :: v_dual_mov_b32 v17, s35
	s_sleep 1
	global_store_b64 v[20:21], v[18:19], off
	global_wb scope:SCOPE_SYS
	s_wait_storecnt 0x0
	s_wait_xcnt 0x0
	global_atomic_cmpswap_b64 v[16:17], v1, v[16:19], s[20:21] offset:32 th:TH_ATOMIC_RETURN scope:SCOPE_SYS
	s_wait_loadcnt 0x0
	v_cmp_eq_u64_e32 vcc_lo, v[16:17], v[18:19]
	v_mov_b64_e32 v[18:19], v[16:17]
	s_or_b32 s37, vcc_lo, s37
	s_delay_alu instid0(SALU_CYCLE_1)
	s_and_not1_b32 exec_lo, exec_lo, s37
	s_cbranch_execnz .LBB2_818
.LBB2_819:                              ;   in Loop: Header=BB2_431 Depth=1
	s_or_b32 exec_lo, exec_lo, s36
	global_load_b64 v[16:17], v1, s[20:21] offset:16
	s_mov_b32 s37, exec_lo
	s_mov_b32 s36, exec_lo
	v_mbcnt_lo_u32_b32 v0, s37, 0
	s_wait_xcnt 0x0
	s_delay_alu instid0(VALU_DEP_1)
	v_cmpx_eq_u32_e32 0, v0
	s_cbranch_execz .LBB2_821
; %bb.820:                              ;   in Loop: Header=BB2_431 Depth=1
	s_bcnt1_i32_b32 s37, s37
	s_delay_alu instid0(SALU_CYCLE_1)
	v_mov_b32_e32 v0, s37
	global_wb scope:SCOPE_SYS
	s_wait_loadcnt 0x0
	s_wait_storecnt 0x0
	global_atomic_add_u64 v[16:17], v[0:1], off offset:8 scope:SCOPE_SYS
.LBB2_821:                              ;   in Loop: Header=BB2_431 Depth=1
	s_wait_xcnt 0x0
	s_or_b32 exec_lo, exec_lo, s36
	s_wait_loadcnt 0x0
	global_load_b64 v[18:19], v[16:17], off offset:16
	s_wait_loadcnt 0x0
	v_cmp_eq_u64_e32 vcc_lo, 0, v[18:19]
	s_cbranch_vccnz .LBB2_823
; %bb.822:                              ;   in Loop: Header=BB2_431 Depth=1
	global_load_b32 v0, v[16:17], off offset:24
	s_wait_loadcnt 0x0
	v_readfirstlane_b32 s36, v0
	global_wb scope:SCOPE_SYS
	s_wait_storecnt 0x0
	s_wait_xcnt 0x0
	global_store_b64 v[18:19], v[0:1], off scope:SCOPE_SYS
	s_and_b32 m0, s36, 0xffffff
	s_sendmsg sendmsg(MSG_INTERRUPT)
.LBB2_823:                              ;   in Loop: Header=BB2_431 Depth=1
	s_wait_xcnt 0x0
	s_or_b32 exec_lo, exec_lo, s3
	v_mov_b32_e32 v39, v1
	s_delay_alu instid0(VALU_DEP_1)
	v_add_nc_u64_e32 v[16:17], v[22:23], v[38:39]
	s_branch .LBB2_827
.LBB2_824:                              ;   in Loop: Header=BB2_827 Depth=2
	s_wait_xcnt 0x0
	s_or_b32 exec_lo, exec_lo, s3
	s_delay_alu instid0(VALU_DEP_1)
	v_readfirstlane_b32 s3, v0
	s_cmp_eq_u32 s3, 0
	s_cbranch_scc1 .LBB2_826
; %bb.825:                              ;   in Loop: Header=BB2_827 Depth=2
	s_sleep 1
	s_cbranch_execnz .LBB2_827
	s_branch .LBB2_829
.LBB2_826:                              ;   in Loop: Header=BB2_431 Depth=1
	s_branch .LBB2_829
.LBB2_827:                              ;   Parent Loop BB2_431 Depth=1
                                        ; =>  This Inner Loop Header: Depth=2
	v_mov_b32_e32 v0, 1
	s_and_saveexec_b32 s3, s2
	s_cbranch_execz .LBB2_824
; %bb.828:                              ;   in Loop: Header=BB2_827 Depth=2
	global_load_b32 v0, v[6:7], off offset:20 scope:SCOPE_SYS
	s_wait_loadcnt 0x0
	global_inv scope:SCOPE_SYS
	v_and_b32_e32 v0, 1, v0
	s_branch .LBB2_824
.LBB2_829:                              ;   in Loop: Header=BB2_431 Depth=1
	global_load_b64 v[18:19], v[16:17], off
	s_wait_xcnt 0x0
	s_and_saveexec_b32 s36, s2
	s_cbranch_execz .LBB2_833
; %bb.830:                              ;   in Loop: Header=BB2_431 Depth=1
	s_clause 0x2
	global_load_b64 v[6:7], v1, s[20:21] offset:40
	global_load_b64 v[24:25], v1, s[20:21] offset:24 scope:SCOPE_SYS
	global_load_b64 v[16:17], v1, s[20:21]
	s_wait_loadcnt 0x2
	v_readfirstlane_b32 s38, v6
	v_readfirstlane_b32 s39, v7
	s_add_nc_u64 s[2:3], s[38:39], 1
	s_delay_alu instid0(SALU_CYCLE_1) | instskip(NEXT) | instid1(SALU_CYCLE_1)
	s_add_nc_u64 s[34:35], s[2:3], s[34:35]
	s_cmp_eq_u64 s[34:35], 0
	s_cselect_b32 s3, s3, s35
	s_cselect_b32 s2, s2, s34
	s_delay_alu instid0(SALU_CYCLE_1) | instskip(SKIP_1) | instid1(SALU_CYCLE_1)
	v_dual_mov_b32 v23, s3 :: v_dual_mov_b32 v22, s2
	s_and_b64 s[34:35], s[2:3], s[38:39]
	s_mul_u64 s[34:35], s[34:35], 24
	s_wait_loadcnt 0x0
	v_add_nc_u64_e32 v[6:7], s[34:35], v[16:17]
	global_store_b64 v[6:7], v[24:25], off
	global_wb scope:SCOPE_SYS
	s_wait_storecnt 0x0
	s_wait_xcnt 0x0
	global_atomic_cmpswap_b64 v[22:23], v1, v[22:25], s[20:21] offset:24 th:TH_ATOMIC_RETURN scope:SCOPE_SYS
	s_wait_loadcnt 0x0
	v_cmp_ne_u64_e32 vcc_lo, v[22:23], v[24:25]
	s_and_b32 exec_lo, exec_lo, vcc_lo
	s_cbranch_execz .LBB2_833
; %bb.831:                              ;   in Loop: Header=BB2_431 Depth=1
	s_mov_b32 s34, 0
.LBB2_832:                              ;   Parent Loop BB2_431 Depth=1
                                        ; =>  This Inner Loop Header: Depth=2
	v_dual_mov_b32 v20, s2 :: v_dual_mov_b32 v21, s3
	s_sleep 1
	global_store_b64 v[6:7], v[22:23], off
	global_wb scope:SCOPE_SYS
	s_wait_storecnt 0x0
	s_wait_xcnt 0x0
	global_atomic_cmpswap_b64 v[16:17], v1, v[20:23], s[20:21] offset:24 th:TH_ATOMIC_RETURN scope:SCOPE_SYS
	s_wait_loadcnt 0x0
	v_cmp_eq_u64_e32 vcc_lo, v[16:17], v[22:23]
	v_mov_b64_e32 v[22:23], v[16:17]
	s_or_b32 s34, vcc_lo, s34
	s_delay_alu instid0(SALU_CYCLE_1)
	s_and_not1_b32 exec_lo, exec_lo, s34
	s_cbranch_execnz .LBB2_832
.LBB2_833:                              ;   in Loop: Header=BB2_431 Depth=1
	s_or_b32 exec_lo, exec_lo, s36
.LBB2_834:                              ;   in Loop: Header=BB2_431 Depth=1
	v_readfirstlane_b32 s2, v46
	v_mov_b64_e32 v[6:7], 0
	s_delay_alu instid0(VALU_DEP_2)
	v_cmp_eq_u32_e64 s2, s2, v46
	s_and_saveexec_b32 s3, s2
	s_cbranch_execz .LBB2_840
; %bb.835:                              ;   in Loop: Header=BB2_431 Depth=1
	global_load_b64 v[22:23], v1, s[20:21] offset:24 scope:SCOPE_SYS
	s_wait_loadcnt 0x0
	global_inv scope:SCOPE_SYS
	s_clause 0x1
	global_load_b64 v[6:7], v1, s[20:21] offset:40
	global_load_b64 v[16:17], v1, s[20:21]
	s_mov_b32 s34, exec_lo
	s_wait_loadcnt 0x1
	v_and_b32_e32 v6, v6, v22
	v_and_b32_e32 v7, v7, v23
	s_delay_alu instid0(VALU_DEP_1) | instskip(SKIP_1) | instid1(VALU_DEP_1)
	v_mul_u64_e32 v[6:7], 24, v[6:7]
	s_wait_loadcnt 0x0
	v_add_nc_u64_e32 v[6:7], v[16:17], v[6:7]
	global_load_b64 v[20:21], v[6:7], off scope:SCOPE_SYS
	s_wait_xcnt 0x0
	s_wait_loadcnt 0x0
	global_atomic_cmpswap_b64 v[6:7], v1, v[20:23], s[20:21] offset:24 th:TH_ATOMIC_RETURN scope:SCOPE_SYS
	s_wait_loadcnt 0x0
	global_inv scope:SCOPE_SYS
	s_wait_xcnt 0x0
	v_cmpx_ne_u64_e64 v[6:7], v[22:23]
	s_cbranch_execz .LBB2_839
; %bb.836:                              ;   in Loop: Header=BB2_431 Depth=1
	s_mov_b32 s35, 0
.LBB2_837:                              ;   Parent Loop BB2_431 Depth=1
                                        ; =>  This Inner Loop Header: Depth=2
	s_sleep 1
	s_clause 0x1
	global_load_b64 v[16:17], v1, s[20:21] offset:40
	global_load_b64 v[20:21], v1, s[20:21]
	v_mov_b64_e32 v[22:23], v[6:7]
	s_wait_loadcnt 0x1
	s_delay_alu instid0(VALU_DEP_1) | instskip(SKIP_1) | instid1(VALU_DEP_1)
	v_and_b32_e32 v0, v16, v22
	s_wait_loadcnt 0x0
	v_mad_nc_u64_u32 v[6:7], v0, 24, v[20:21]
	s_delay_alu instid0(VALU_DEP_3) | instskip(NEXT) | instid1(VALU_DEP_1)
	v_and_b32_e32 v0, v17, v23
	v_mad_u32 v7, v0, 24, v7
	global_load_b64 v[20:21], v[6:7], off scope:SCOPE_SYS
	s_wait_xcnt 0x0
	s_wait_loadcnt 0x0
	global_atomic_cmpswap_b64 v[6:7], v1, v[20:23], s[20:21] offset:24 th:TH_ATOMIC_RETURN scope:SCOPE_SYS
	s_wait_loadcnt 0x0
	global_inv scope:SCOPE_SYS
	v_cmp_eq_u64_e32 vcc_lo, v[6:7], v[22:23]
	s_or_b32 s35, vcc_lo, s35
	s_wait_xcnt 0x0
	s_and_not1_b32 exec_lo, exec_lo, s35
	s_cbranch_execnz .LBB2_837
; %bb.838:                              ;   in Loop: Header=BB2_431 Depth=1
	s_or_b32 exec_lo, exec_lo, s35
.LBB2_839:                              ;   in Loop: Header=BB2_431 Depth=1
	s_delay_alu instid0(SALU_CYCLE_1)
	s_or_b32 exec_lo, exec_lo, s34
.LBB2_840:                              ;   in Loop: Header=BB2_431 Depth=1
	s_delay_alu instid0(SALU_CYCLE_1)
	s_or_b32 exec_lo, exec_lo, s3
	s_wait_loadcnt 0x0
	s_clause 0x1
	global_load_b64 v[16:17], v1, s[20:21] offset:40
	global_load_b128 v[22:25], v1, s[20:21]
	v_readfirstlane_b32 s34, v6
	v_readfirstlane_b32 s35, v7
	s_mov_b32 s3, exec_lo
	s_wait_loadcnt 0x1
	v_and_b32_e32 v16, s34, v16
	v_and_b32_e32 v17, s35, v17
	s_delay_alu instid0(VALU_DEP_1) | instskip(SKIP_1) | instid1(VALU_DEP_1)
	v_mul_u64_e32 v[6:7], 24, v[16:17]
	s_wait_loadcnt 0x0
	v_add_nc_u64_e32 v[6:7], v[22:23], v[6:7]
	s_wait_xcnt 0x0
	s_and_saveexec_b32 s36, s2
	s_cbranch_execz .LBB2_842
; %bb.841:                              ;   in Loop: Header=BB2_431 Depth=1
	v_mov_b32_e32 v0, s3
	global_store_b128 v[6:7], v[0:3], off offset:8
.LBB2_842:                              ;   in Loop: Header=BB2_431 Depth=1
	s_wait_xcnt 0x0
	s_or_b32 exec_lo, exec_lo, s36
	v_lshlrev_b64_e32 v[16:17], 12, v[16:17]
	s_ashr_i32 s3, s47, 1
	v_and_or_b32 v18, 0xffffff1d, v18, 34
	v_dual_mov_b32 v21, v1 :: v_dual_mov_b32 v20, s3
	s_delay_alu instid0(VALU_DEP_3) | instskip(SKIP_2) | instid1(VALU_DEP_3)
	v_add_nc_u64_e32 v[16:17], v[24:25], v[16:17]
	v_mov_b64_e32 v[26:27], s[10:11]
	v_mov_b64_e32 v[24:25], s[8:9]
	v_readfirstlane_b32 s36, v16
	s_delay_alu instid0(VALU_DEP_4)
	v_readfirstlane_b32 s37, v17
	s_clause 0x3
	global_store_b128 v38, v[18:21], s[36:37]
	global_store_b128 v38, v[24:27], s[36:37] offset:16
	global_store_b128 v38, v[24:27], s[36:37] offset:32
	;; [unrolled: 1-line block ×3, first 2 shown]
	s_wait_xcnt 0x0
	s_and_saveexec_b32 s3, s2
	s_cbranch_execz .LBB2_850
; %bb.843:                              ;   in Loop: Header=BB2_431 Depth=1
	s_clause 0x1
	global_load_b64 v[24:25], v1, s[20:21] offset:32 scope:SCOPE_SYS
	global_load_b64 v[16:17], v1, s[20:21] offset:40
	s_mov_b32 s36, exec_lo
	s_wait_loadcnt 0x0
	v_and_b32_e32 v16, s34, v16
	v_and_b32_e32 v17, s35, v17
	s_delay_alu instid0(VALU_DEP_1) | instskip(NEXT) | instid1(VALU_DEP_1)
	v_mul_u64_e32 v[16:17], 24, v[16:17]
	v_add_nc_u64_e32 v[20:21], v[22:23], v[16:17]
	v_dual_mov_b32 v22, s34 :: v_dual_mov_b32 v23, s35
	global_store_b64 v[20:21], v[24:25], off
	global_wb scope:SCOPE_SYS
	s_wait_storecnt 0x0
	s_wait_xcnt 0x0
	global_atomic_cmpswap_b64 v[18:19], v1, v[22:25], s[20:21] offset:32 th:TH_ATOMIC_RETURN scope:SCOPE_SYS
	s_wait_loadcnt 0x0
	v_cmpx_ne_u64_e64 v[18:19], v[24:25]
	s_cbranch_execz .LBB2_846
; %bb.844:                              ;   in Loop: Header=BB2_431 Depth=1
	s_mov_b32 s37, 0
.LBB2_845:                              ;   Parent Loop BB2_431 Depth=1
                                        ; =>  This Inner Loop Header: Depth=2
	v_dual_mov_b32 v16, s34 :: v_dual_mov_b32 v17, s35
	s_sleep 1
	global_store_b64 v[20:21], v[18:19], off
	global_wb scope:SCOPE_SYS
	s_wait_storecnt 0x0
	s_wait_xcnt 0x0
	global_atomic_cmpswap_b64 v[16:17], v1, v[16:19], s[20:21] offset:32 th:TH_ATOMIC_RETURN scope:SCOPE_SYS
	s_wait_loadcnt 0x0
	v_cmp_eq_u64_e32 vcc_lo, v[16:17], v[18:19]
	v_mov_b64_e32 v[18:19], v[16:17]
	s_or_b32 s37, vcc_lo, s37
	s_delay_alu instid0(SALU_CYCLE_1)
	s_and_not1_b32 exec_lo, exec_lo, s37
	s_cbranch_execnz .LBB2_845
.LBB2_846:                              ;   in Loop: Header=BB2_431 Depth=1
	s_or_b32 exec_lo, exec_lo, s36
	global_load_b64 v[16:17], v1, s[20:21] offset:16
	s_mov_b32 s37, exec_lo
	s_mov_b32 s36, exec_lo
	v_mbcnt_lo_u32_b32 v0, s37, 0
	s_wait_xcnt 0x0
	s_delay_alu instid0(VALU_DEP_1)
	v_cmpx_eq_u32_e32 0, v0
	s_cbranch_execz .LBB2_848
; %bb.847:                              ;   in Loop: Header=BB2_431 Depth=1
	s_bcnt1_i32_b32 s37, s37
	s_delay_alu instid0(SALU_CYCLE_1)
	v_mov_b32_e32 v0, s37
	global_wb scope:SCOPE_SYS
	s_wait_loadcnt 0x0
	s_wait_storecnt 0x0
	global_atomic_add_u64 v[16:17], v[0:1], off offset:8 scope:SCOPE_SYS
.LBB2_848:                              ;   in Loop: Header=BB2_431 Depth=1
	s_wait_xcnt 0x0
	s_or_b32 exec_lo, exec_lo, s36
	s_wait_loadcnt 0x0
	global_load_b64 v[18:19], v[16:17], off offset:16
	s_wait_loadcnt 0x0
	v_cmp_eq_u64_e32 vcc_lo, 0, v[18:19]
	s_cbranch_vccnz .LBB2_850
; %bb.849:                              ;   in Loop: Header=BB2_431 Depth=1
	global_load_b32 v0, v[16:17], off offset:24
	s_wait_loadcnt 0x0
	v_readfirstlane_b32 s36, v0
	global_wb scope:SCOPE_SYS
	s_wait_storecnt 0x0
	s_wait_xcnt 0x0
	global_store_b64 v[18:19], v[0:1], off scope:SCOPE_SYS
	s_and_b32 m0, s36, 0xffffff
	s_sendmsg sendmsg(MSG_INTERRUPT)
.LBB2_850:                              ;   in Loop: Header=BB2_431 Depth=1
	s_wait_xcnt 0x0
	s_or_b32 exec_lo, exec_lo, s3
	s_branch .LBB2_854
.LBB2_851:                              ;   in Loop: Header=BB2_854 Depth=2
	s_wait_xcnt 0x0
	s_or_b32 exec_lo, exec_lo, s3
	s_delay_alu instid0(VALU_DEP_1)
	v_readfirstlane_b32 s3, v0
	s_cmp_eq_u32 s3, 0
	s_cbranch_scc1 .LBB2_853
; %bb.852:                              ;   in Loop: Header=BB2_854 Depth=2
	s_sleep 1
	s_cbranch_execnz .LBB2_854
	s_branch .LBB2_856
.LBB2_853:                              ;   in Loop: Header=BB2_431 Depth=1
	s_branch .LBB2_856
.LBB2_854:                              ;   Parent Loop BB2_431 Depth=1
                                        ; =>  This Inner Loop Header: Depth=2
	v_mov_b32_e32 v0, 1
	s_and_saveexec_b32 s3, s2
	s_cbranch_execz .LBB2_851
; %bb.855:                              ;   in Loop: Header=BB2_854 Depth=2
	global_load_b32 v0, v[6:7], off offset:20 scope:SCOPE_SYS
	s_wait_loadcnt 0x0
	global_inv scope:SCOPE_SYS
	v_and_b32_e32 v0, 1, v0
	s_branch .LBB2_851
.LBB2_856:                              ;   in Loop: Header=BB2_431 Depth=1
	s_and_saveexec_b32 s36, s2
	s_cbranch_execz .LBB2_860
; %bb.857:                              ;   in Loop: Header=BB2_431 Depth=1
	s_clause 0x2
	global_load_b64 v[6:7], v1, s[20:21] offset:40
	global_load_b64 v[20:21], v1, s[20:21] offset:24 scope:SCOPE_SYS
	global_load_b64 v[16:17], v1, s[20:21]
	s_wait_loadcnt 0x2
	v_readfirstlane_b32 s38, v6
	v_readfirstlane_b32 s39, v7
	s_add_nc_u64 s[2:3], s[38:39], 1
	s_delay_alu instid0(SALU_CYCLE_1) | instskip(NEXT) | instid1(SALU_CYCLE_1)
	s_add_nc_u64 s[34:35], s[2:3], s[34:35]
	s_cmp_eq_u64 s[34:35], 0
	s_cselect_b32 s3, s3, s35
	s_cselect_b32 s2, s2, s34
	s_delay_alu instid0(SALU_CYCLE_1) | instskip(SKIP_1) | instid1(SALU_CYCLE_1)
	v_dual_mov_b32 v19, s3 :: v_dual_mov_b32 v18, s2
	s_and_b64 s[34:35], s[2:3], s[38:39]
	s_mul_u64 s[34:35], s[34:35], 24
	s_wait_loadcnt 0x0
	v_add_nc_u64_e32 v[6:7], s[34:35], v[16:17]
	global_store_b64 v[6:7], v[20:21], off
	global_wb scope:SCOPE_SYS
	s_wait_storecnt 0x0
	s_wait_xcnt 0x0
	global_atomic_cmpswap_b64 v[18:19], v1, v[18:21], s[20:21] offset:24 th:TH_ATOMIC_RETURN scope:SCOPE_SYS
	s_wait_loadcnt 0x0
	v_cmp_ne_u64_e32 vcc_lo, v[18:19], v[20:21]
	s_and_b32 exec_lo, exec_lo, vcc_lo
	s_cbranch_execz .LBB2_860
; %bb.858:                              ;   in Loop: Header=BB2_431 Depth=1
	s_mov_b32 s34, 0
.LBB2_859:                              ;   Parent Loop BB2_431 Depth=1
                                        ; =>  This Inner Loop Header: Depth=2
	v_dual_mov_b32 v16, s2 :: v_dual_mov_b32 v17, s3
	s_sleep 1
	global_store_b64 v[6:7], v[18:19], off
	global_wb scope:SCOPE_SYS
	s_wait_storecnt 0x0
	s_wait_xcnt 0x0
	global_atomic_cmpswap_b64 v[16:17], v1, v[16:19], s[20:21] offset:24 th:TH_ATOMIC_RETURN scope:SCOPE_SYS
	s_wait_loadcnt 0x0
	v_cmp_eq_u64_e32 vcc_lo, v[16:17], v[18:19]
	v_mov_b64_e32 v[18:19], v[16:17]
	s_or_b32 s34, vcc_lo, s34
	s_delay_alu instid0(SALU_CYCLE_1)
	s_and_not1_b32 exec_lo, exec_lo, s34
	s_cbranch_execnz .LBB2_859
.LBB2_860:                              ;   in Loop: Header=BB2_431 Depth=1
	s_or_b32 exec_lo, exec_lo, s36
	v_readfirstlane_b32 s2, v46
	v_mov_b64_e32 v[6:7], 0
	s_delay_alu instid0(VALU_DEP_2)
	v_cmp_eq_u32_e64 s2, s2, v46
	s_and_saveexec_b32 s3, s2
	s_cbranch_execz .LBB2_866
; %bb.861:                              ;   in Loop: Header=BB2_431 Depth=1
	global_load_b64 v[18:19], v1, s[20:21] offset:24 scope:SCOPE_SYS
	s_wait_loadcnt 0x0
	global_inv scope:SCOPE_SYS
	s_clause 0x1
	global_load_b64 v[6:7], v1, s[20:21] offset:40
	global_load_b64 v[16:17], v1, s[20:21]
	s_mov_b32 s34, exec_lo
	s_wait_loadcnt 0x1
	v_and_b32_e32 v6, v6, v18
	v_and_b32_e32 v7, v7, v19
	s_delay_alu instid0(VALU_DEP_1) | instskip(SKIP_1) | instid1(VALU_DEP_1)
	v_mul_u64_e32 v[6:7], 24, v[6:7]
	s_wait_loadcnt 0x0
	v_add_nc_u64_e32 v[6:7], v[16:17], v[6:7]
	global_load_b64 v[16:17], v[6:7], off scope:SCOPE_SYS
	s_wait_xcnt 0x0
	s_wait_loadcnt 0x0
	global_atomic_cmpswap_b64 v[6:7], v1, v[16:19], s[20:21] offset:24 th:TH_ATOMIC_RETURN scope:SCOPE_SYS
	s_wait_loadcnt 0x0
	global_inv scope:SCOPE_SYS
	s_wait_xcnt 0x0
	v_cmpx_ne_u64_e64 v[6:7], v[18:19]
	s_cbranch_execz .LBB2_865
; %bb.862:                              ;   in Loop: Header=BB2_431 Depth=1
	s_mov_b32 s35, 0
.LBB2_863:                              ;   Parent Loop BB2_431 Depth=1
                                        ; =>  This Inner Loop Header: Depth=2
	s_sleep 1
	s_clause 0x1
	global_load_b64 v[16:17], v1, s[20:21] offset:40
	global_load_b64 v[20:21], v1, s[20:21]
	v_mov_b64_e32 v[18:19], v[6:7]
	s_wait_loadcnt 0x1
	s_delay_alu instid0(VALU_DEP_1) | instskip(SKIP_1) | instid1(VALU_DEP_1)
	v_and_b32_e32 v0, v16, v18
	s_wait_loadcnt 0x0
	v_mad_nc_u64_u32 v[6:7], v0, 24, v[20:21]
	s_delay_alu instid0(VALU_DEP_3) | instskip(NEXT) | instid1(VALU_DEP_1)
	v_and_b32_e32 v0, v17, v19
	v_mad_u32 v7, v0, 24, v7
	global_load_b64 v[16:17], v[6:7], off scope:SCOPE_SYS
	s_wait_xcnt 0x0
	s_wait_loadcnt 0x0
	global_atomic_cmpswap_b64 v[6:7], v1, v[16:19], s[20:21] offset:24 th:TH_ATOMIC_RETURN scope:SCOPE_SYS
	s_wait_loadcnt 0x0
	global_inv scope:SCOPE_SYS
	v_cmp_eq_u64_e32 vcc_lo, v[6:7], v[18:19]
	s_or_b32 s35, vcc_lo, s35
	s_wait_xcnt 0x0
	s_and_not1_b32 exec_lo, exec_lo, s35
	s_cbranch_execnz .LBB2_863
; %bb.864:                              ;   in Loop: Header=BB2_431 Depth=1
	s_or_b32 exec_lo, exec_lo, s35
.LBB2_865:                              ;   in Loop: Header=BB2_431 Depth=1
	s_delay_alu instid0(SALU_CYCLE_1)
	s_or_b32 exec_lo, exec_lo, s34
.LBB2_866:                              ;   in Loop: Header=BB2_431 Depth=1
	s_delay_alu instid0(SALU_CYCLE_1)
	s_or_b32 exec_lo, exec_lo, s3
	s_clause 0x1
	global_load_b64 v[20:21], v1, s[20:21] offset:40
	global_load_b128 v[16:19], v1, s[20:21]
	v_readfirstlane_b32 s34, v6
	v_readfirstlane_b32 s35, v7
	s_mov_b32 s3, exec_lo
	s_wait_loadcnt 0x1
	v_and_b32_e32 v6, s34, v20
	v_and_b32_e32 v7, s35, v21
	s_delay_alu instid0(VALU_DEP_1) | instskip(SKIP_1) | instid1(VALU_DEP_1)
	v_mul_u64_e32 v[20:21], 24, v[6:7]
	s_wait_loadcnt 0x0
	v_add_nc_u64_e32 v[20:21], v[16:17], v[20:21]
	s_wait_xcnt 0x0
	s_and_saveexec_b32 s36, s2
	s_cbranch_execz .LBB2_868
; %bb.867:                              ;   in Loop: Header=BB2_431 Depth=1
	v_mov_b32_e32 v0, s3
	global_store_b128 v[20:21], v[0:3], off offset:8
.LBB2_868:                              ;   in Loop: Header=BB2_431 Depth=1
	s_wait_xcnt 0x0
	s_or_b32 exec_lo, exec_lo, s36
	v_lshlrev_b64_e32 v[6:7], 12, v[6:7]
	v_mov_b64_e32 v[26:27], s[10:11]
	v_mov_b64_e32 v[24:25], s[8:9]
	v_mov_b32_e32 v5, v1
	s_delay_alu instid0(VALU_DEP_4) | instskip(SKIP_1) | instid1(VALU_DEP_2)
	v_add_nc_u64_e32 v[22:23], v[18:19], v[6:7]
	v_dual_mov_b32 v6, v1 :: v_dual_mov_b32 v7, v1
	v_readfirstlane_b32 s36, v22
	s_delay_alu instid0(VALU_DEP_3)
	v_readfirstlane_b32 s37, v23
	s_clause 0x3
	global_store_b128 v38, v[4:7], s[36:37]
	global_store_b128 v38, v[24:27], s[36:37] offset:16
	global_store_b128 v38, v[24:27], s[36:37] offset:32
	;; [unrolled: 1-line block ×3, first 2 shown]
	s_wait_xcnt 0x0
	s_and_saveexec_b32 s3, s2
	s_cbranch_execz .LBB2_876
; %bb.869:                              ;   in Loop: Header=BB2_431 Depth=1
	s_clause 0x1
	global_load_b64 v[26:27], v1, s[20:21] offset:32 scope:SCOPE_SYS
	global_load_b64 v[6:7], v1, s[20:21] offset:40
	s_mov_b32 s36, exec_lo
	v_dual_mov_b32 v24, s34 :: v_dual_mov_b32 v25, s35
	s_wait_loadcnt 0x0
	v_and_b32_e32 v7, s35, v7
	v_and_b32_e32 v6, s34, v6
	s_delay_alu instid0(VALU_DEP_1) | instskip(NEXT) | instid1(VALU_DEP_1)
	v_mul_u64_e32 v[6:7], 24, v[6:7]
	v_add_nc_u64_e32 v[6:7], v[16:17], v[6:7]
	global_store_b64 v[6:7], v[26:27], off
	global_wb scope:SCOPE_SYS
	s_wait_storecnt 0x0
	s_wait_xcnt 0x0
	global_atomic_cmpswap_b64 v[18:19], v1, v[24:27], s[20:21] offset:32 th:TH_ATOMIC_RETURN scope:SCOPE_SYS
	s_wait_loadcnt 0x0
	v_cmpx_ne_u64_e64 v[18:19], v[26:27]
	s_cbranch_execz .LBB2_872
; %bb.870:                              ;   in Loop: Header=BB2_431 Depth=1
	s_mov_b32 s37, 0
.LBB2_871:                              ;   Parent Loop BB2_431 Depth=1
                                        ; =>  This Inner Loop Header: Depth=2
	v_dual_mov_b32 v16, s34 :: v_dual_mov_b32 v17, s35
	s_sleep 1
	global_store_b64 v[6:7], v[18:19], off
	global_wb scope:SCOPE_SYS
	s_wait_storecnt 0x0
	s_wait_xcnt 0x0
	global_atomic_cmpswap_b64 v[16:17], v1, v[16:19], s[20:21] offset:32 th:TH_ATOMIC_RETURN scope:SCOPE_SYS
	s_wait_loadcnt 0x0
	v_cmp_eq_u64_e32 vcc_lo, v[16:17], v[18:19]
	v_mov_b64_e32 v[18:19], v[16:17]
	s_or_b32 s37, vcc_lo, s37
	s_delay_alu instid0(SALU_CYCLE_1)
	s_and_not1_b32 exec_lo, exec_lo, s37
	s_cbranch_execnz .LBB2_871
.LBB2_872:                              ;   in Loop: Header=BB2_431 Depth=1
	s_or_b32 exec_lo, exec_lo, s36
	global_load_b64 v[6:7], v1, s[20:21] offset:16
	s_mov_b32 s37, exec_lo
	s_mov_b32 s36, exec_lo
	v_mbcnt_lo_u32_b32 v0, s37, 0
	s_wait_xcnt 0x0
	s_delay_alu instid0(VALU_DEP_1)
	v_cmpx_eq_u32_e32 0, v0
	s_cbranch_execz .LBB2_874
; %bb.873:                              ;   in Loop: Header=BB2_431 Depth=1
	s_bcnt1_i32_b32 s37, s37
	s_delay_alu instid0(SALU_CYCLE_1)
	v_mov_b32_e32 v0, s37
	global_wb scope:SCOPE_SYS
	s_wait_loadcnt 0x0
	s_wait_storecnt 0x0
	global_atomic_add_u64 v[6:7], v[0:1], off offset:8 scope:SCOPE_SYS
.LBB2_874:                              ;   in Loop: Header=BB2_431 Depth=1
	s_wait_xcnt 0x0
	s_or_b32 exec_lo, exec_lo, s36
	s_wait_loadcnt 0x0
	global_load_b64 v[16:17], v[6:7], off offset:16
	s_wait_loadcnt 0x0
	v_cmp_eq_u64_e32 vcc_lo, 0, v[16:17]
	s_cbranch_vccnz .LBB2_876
; %bb.875:                              ;   in Loop: Header=BB2_431 Depth=1
	global_load_b32 v0, v[6:7], off offset:24
	s_wait_loadcnt 0x0
	v_readfirstlane_b32 s36, v0
	global_wb scope:SCOPE_SYS
	s_wait_storecnt 0x0
	s_wait_xcnt 0x0
	global_store_b64 v[16:17], v[0:1], off scope:SCOPE_SYS
	s_and_b32 m0, s36, 0xffffff
	s_sendmsg sendmsg(MSG_INTERRUPT)
.LBB2_876:                              ;   in Loop: Header=BB2_431 Depth=1
	s_wait_xcnt 0x0
	s_or_b32 exec_lo, exec_lo, s3
	v_mov_b32_e32 v39, v1
	s_delay_alu instid0(VALU_DEP_1)
	v_add_nc_u64_e32 v[6:7], v[22:23], v[38:39]
	s_branch .LBB2_880
.LBB2_877:                              ;   in Loop: Header=BB2_880 Depth=2
	s_wait_xcnt 0x0
	s_or_b32 exec_lo, exec_lo, s3
	s_delay_alu instid0(VALU_DEP_1)
	v_readfirstlane_b32 s3, v0
	s_cmp_eq_u32 s3, 0
	s_cbranch_scc1 .LBB2_879
; %bb.878:                              ;   in Loop: Header=BB2_880 Depth=2
	s_sleep 1
	s_cbranch_execnz .LBB2_880
	s_branch .LBB2_882
.LBB2_879:                              ;   in Loop: Header=BB2_431 Depth=1
	s_branch .LBB2_882
.LBB2_880:                              ;   Parent Loop BB2_431 Depth=1
                                        ; =>  This Inner Loop Header: Depth=2
	v_mov_b32_e32 v0, 1
	s_and_saveexec_b32 s3, s2
	s_cbranch_execz .LBB2_877
; %bb.881:                              ;   in Loop: Header=BB2_880 Depth=2
	global_load_b32 v0, v[20:21], off offset:20 scope:SCOPE_SYS
	s_wait_loadcnt 0x0
	global_inv scope:SCOPE_SYS
	v_and_b32_e32 v0, 1, v0
	s_branch .LBB2_877
.LBB2_882:                              ;   in Loop: Header=BB2_431 Depth=1
	global_load_b64 v[20:21], v[6:7], off
	s_wait_xcnt 0x0
	s_and_saveexec_b32 s36, s2
	s_cbranch_execz .LBB2_886
; %bb.883:                              ;   in Loop: Header=BB2_431 Depth=1
	s_clause 0x2
	global_load_b64 v[6:7], v1, s[20:21] offset:40
	global_load_b64 v[24:25], v1, s[20:21] offset:24 scope:SCOPE_SYS
	global_load_b64 v[16:17], v1, s[20:21]
	s_wait_loadcnt 0x2
	v_readfirstlane_b32 s38, v6
	v_readfirstlane_b32 s39, v7
	s_add_nc_u64 s[2:3], s[38:39], 1
	s_delay_alu instid0(SALU_CYCLE_1) | instskip(NEXT) | instid1(SALU_CYCLE_1)
	s_add_nc_u64 s[34:35], s[2:3], s[34:35]
	s_cmp_eq_u64 s[34:35], 0
	s_cselect_b32 s3, s3, s35
	s_cselect_b32 s2, s2, s34
	s_delay_alu instid0(SALU_CYCLE_1) | instskip(SKIP_1) | instid1(SALU_CYCLE_1)
	v_dual_mov_b32 v23, s3 :: v_dual_mov_b32 v22, s2
	s_and_b64 s[34:35], s[2:3], s[38:39]
	s_mul_u64 s[34:35], s[34:35], 24
	s_wait_loadcnt 0x0
	v_add_nc_u64_e32 v[6:7], s[34:35], v[16:17]
	global_store_b64 v[6:7], v[24:25], off
	global_wb scope:SCOPE_SYS
	s_wait_storecnt 0x0
	s_wait_xcnt 0x0
	global_atomic_cmpswap_b64 v[18:19], v1, v[22:25], s[20:21] offset:24 th:TH_ATOMIC_RETURN scope:SCOPE_SYS
	s_wait_loadcnt 0x0
	v_cmp_ne_u64_e32 vcc_lo, v[18:19], v[24:25]
	s_and_b32 exec_lo, exec_lo, vcc_lo
	s_cbranch_execz .LBB2_886
; %bb.884:                              ;   in Loop: Header=BB2_431 Depth=1
	s_mov_b32 s34, 0
.LBB2_885:                              ;   Parent Loop BB2_431 Depth=1
                                        ; =>  This Inner Loop Header: Depth=2
	v_dual_mov_b32 v16, s2 :: v_dual_mov_b32 v17, s3
	s_sleep 1
	global_store_b64 v[6:7], v[18:19], off
	global_wb scope:SCOPE_SYS
	s_wait_storecnt 0x0
	s_wait_xcnt 0x0
	global_atomic_cmpswap_b64 v[16:17], v1, v[16:19], s[20:21] offset:24 th:TH_ATOMIC_RETURN scope:SCOPE_SYS
	s_wait_loadcnt 0x0
	v_cmp_eq_u64_e32 vcc_lo, v[16:17], v[18:19]
	v_mov_b64_e32 v[18:19], v[16:17]
	s_or_b32 s34, vcc_lo, s34
	s_delay_alu instid0(SALU_CYCLE_1)
	s_and_not1_b32 exec_lo, exec_lo, s34
	s_cbranch_execnz .LBB2_885
.LBB2_886:                              ;   in Loop: Header=BB2_431 Depth=1
	s_or_b32 exec_lo, exec_lo, s36
	s_delay_alu instid0(SALU_CYCLE_1)
	s_and_b32 vcc_lo, exec_lo, s45
	s_cbranch_vccz .LBB2_965
; %bb.887:                              ;   in Loop: Header=BB2_431 Depth=1
	s_wait_loadcnt 0x0
	v_dual_mov_b32 v17, v21 :: v_dual_bitop2_b32 v6, 2, v20 bitop3:0x40
	v_and_b32_e32 v16, -3, v20
	s_mov_b64 s[34:35], 6
	s_mov_b64 s[36:37], s[30:31]
	s_branch .LBB2_889
.LBB2_888:                              ;   in Loop: Header=BB2_889 Depth=2
	s_or_b32 exec_lo, exec_lo, s42
	s_sub_nc_u64 s[34:35], s[34:35], s[38:39]
	s_add_nc_u64 s[36:37], s[36:37], s[38:39]
	s_cmp_lg_u64 s[34:35], 0
	s_cbranch_scc0 .LBB2_964
.LBB2_889:                              ;   Parent Loop BB2_431 Depth=1
                                        ; =>  This Loop Header: Depth=2
                                        ;       Child Loop BB2_892 Depth 3
                                        ;       Child Loop BB2_899 Depth 3
	;; [unrolled: 1-line block ×11, first 2 shown]
	v_min_u64 v[18:19], s[34:35], 56
	v_cmp_gt_u64_e64 s2, s[34:35], 7
	s_and_b32 vcc_lo, exec_lo, s2
	v_readfirstlane_b32 s38, v18
	v_readfirstlane_b32 s39, v19
	s_cbranch_vccnz .LBB2_894
; %bb.890:                              ;   in Loop: Header=BB2_889 Depth=2
	v_mov_b64_e32 v[18:19], 0
	s_cmp_eq_u64 s[34:35], 0
	s_cbranch_scc1 .LBB2_893
; %bb.891:                              ;   in Loop: Header=BB2_889 Depth=2
	s_mov_b64 s[2:3], 0
	s_mov_b64 s[40:41], 0
.LBB2_892:                              ;   Parent Loop BB2_431 Depth=1
                                        ;     Parent Loop BB2_889 Depth=2
                                        ; =>    This Inner Loop Header: Depth=3
	s_wait_xcnt 0x0
	s_add_nc_u64 s[42:43], s[36:37], s[40:41]
	s_add_nc_u64 s[40:41], s[40:41], 1
	global_load_u8 v0, v1, s[42:43]
	s_cmp_lg_u32 s38, s40
	s_wait_loadcnt 0x0
	v_and_b32_e32 v0, 0xffff, v0
	s_delay_alu instid0(VALU_DEP_1) | instskip(SKIP_1) | instid1(VALU_DEP_1)
	v_lshlrev_b64_e32 v[22:23], s2, v[0:1]
	s_add_nc_u64 s[2:3], s[2:3], 8
	v_or_b32_e32 v18, v22, v18
	s_delay_alu instid0(VALU_DEP_2)
	v_or_b32_e32 v19, v23, v19
	s_cbranch_scc1 .LBB2_892
.LBB2_893:                              ;   in Loop: Header=BB2_889 Depth=2
	s_mov_b64 s[2:3], s[36:37]
	s_mov_b32 s47, 0
	s_cbranch_execz .LBB2_895
	s_branch .LBB2_896
.LBB2_894:                              ;   in Loop: Header=BB2_889 Depth=2
	s_add_nc_u64 s[2:3], s[36:37], 8
	s_mov_b32 s47, 0
.LBB2_895:                              ;   in Loop: Header=BB2_889 Depth=2
	global_load_b64 v[18:19], v1, s[36:37]
	s_add_co_i32 s47, s38, -8
.LBB2_896:                              ;   in Loop: Header=BB2_889 Depth=2
	s_delay_alu instid0(SALU_CYCLE_1)
	s_cmp_gt_u32 s47, 7
	s_cbranch_scc1 .LBB2_901
; %bb.897:                              ;   in Loop: Header=BB2_889 Depth=2
	v_mov_b64_e32 v[22:23], 0
	s_cmp_eq_u32 s47, 0
	s_cbranch_scc1 .LBB2_900
; %bb.898:                              ;   in Loop: Header=BB2_889 Depth=2
	s_mov_b64 s[40:41], 0
	s_wait_xcnt 0x0
	s_mov_b64 s[42:43], 0
.LBB2_899:                              ;   Parent Loop BB2_431 Depth=1
                                        ;     Parent Loop BB2_889 Depth=2
                                        ; =>    This Inner Loop Header: Depth=3
	s_wait_xcnt 0x0
	s_add_nc_u64 s[48:49], s[2:3], s[42:43]
	s_add_nc_u64 s[42:43], s[42:43], 1
	global_load_u8 v0, v1, s[48:49]
	s_cmp_lg_u32 s47, s42
	s_wait_loadcnt 0x0
	v_and_b32_e32 v0, 0xffff, v0
	s_delay_alu instid0(VALU_DEP_1) | instskip(SKIP_1) | instid1(VALU_DEP_1)
	v_lshlrev_b64_e32 v[24:25], s40, v[0:1]
	s_add_nc_u64 s[40:41], s[40:41], 8
	v_or_b32_e32 v22, v24, v22
	s_delay_alu instid0(VALU_DEP_2)
	v_or_b32_e32 v23, v25, v23
	s_cbranch_scc1 .LBB2_899
.LBB2_900:                              ;   in Loop: Header=BB2_889 Depth=2
	s_wait_xcnt 0x0
	s_mov_b64 s[40:41], s[2:3]
	s_mov_b32 s48, 0
	s_cbranch_execz .LBB2_902
	s_branch .LBB2_903
.LBB2_901:                              ;   in Loop: Header=BB2_889 Depth=2
	s_add_nc_u64 s[40:41], s[2:3], 8
	s_wait_xcnt 0x0
                                        ; implicit-def: $vgpr22_vgpr23
	s_mov_b32 s48, 0
.LBB2_902:                              ;   in Loop: Header=BB2_889 Depth=2
	global_load_b64 v[22:23], v1, s[2:3]
	s_add_co_i32 s48, s47, -8
.LBB2_903:                              ;   in Loop: Header=BB2_889 Depth=2
	s_delay_alu instid0(SALU_CYCLE_1)
	s_cmp_gt_u32 s48, 7
	s_cbranch_scc1 .LBB2_908
; %bb.904:                              ;   in Loop: Header=BB2_889 Depth=2
	v_mov_b64_e32 v[24:25], 0
	s_cmp_eq_u32 s48, 0
	s_cbranch_scc1 .LBB2_907
; %bb.905:                              ;   in Loop: Header=BB2_889 Depth=2
	s_wait_xcnt 0x0
	s_mov_b64 s[2:3], 0
	s_mov_b64 s[42:43], 0
.LBB2_906:                              ;   Parent Loop BB2_431 Depth=1
                                        ;     Parent Loop BB2_889 Depth=2
                                        ; =>    This Inner Loop Header: Depth=3
	s_wait_xcnt 0x0
	s_add_nc_u64 s[50:51], s[40:41], s[42:43]
	s_add_nc_u64 s[42:43], s[42:43], 1
	global_load_u8 v0, v1, s[50:51]
	s_cmp_lg_u32 s48, s42
	s_wait_loadcnt 0x0
	v_and_b32_e32 v0, 0xffff, v0
	s_delay_alu instid0(VALU_DEP_1) | instskip(SKIP_1) | instid1(VALU_DEP_1)
	v_lshlrev_b64_e32 v[26:27], s2, v[0:1]
	s_add_nc_u64 s[2:3], s[2:3], 8
	v_or_b32_e32 v24, v26, v24
	s_delay_alu instid0(VALU_DEP_2)
	v_or_b32_e32 v25, v27, v25
	s_cbranch_scc1 .LBB2_906
.LBB2_907:                              ;   in Loop: Header=BB2_889 Depth=2
	s_wait_xcnt 0x0
	s_mov_b64 s[2:3], s[40:41]
	s_mov_b32 s47, 0
	s_cbranch_execz .LBB2_909
	s_branch .LBB2_910
.LBB2_908:                              ;   in Loop: Header=BB2_889 Depth=2
	s_wait_xcnt 0x0
	s_add_nc_u64 s[2:3], s[40:41], 8
	s_mov_b32 s47, 0
.LBB2_909:                              ;   in Loop: Header=BB2_889 Depth=2
	global_load_b64 v[24:25], v1, s[40:41]
	s_add_co_i32 s47, s48, -8
.LBB2_910:                              ;   in Loop: Header=BB2_889 Depth=2
	s_delay_alu instid0(SALU_CYCLE_1)
	s_cmp_gt_u32 s47, 7
	s_cbranch_scc1 .LBB2_915
; %bb.911:                              ;   in Loop: Header=BB2_889 Depth=2
	v_mov_b64_e32 v[26:27], 0
	s_cmp_eq_u32 s47, 0
	s_cbranch_scc1 .LBB2_914
; %bb.912:                              ;   in Loop: Header=BB2_889 Depth=2
	s_wait_xcnt 0x0
	s_mov_b64 s[40:41], 0
	s_mov_b64 s[42:43], 0
.LBB2_913:                              ;   Parent Loop BB2_431 Depth=1
                                        ;     Parent Loop BB2_889 Depth=2
                                        ; =>    This Inner Loop Header: Depth=3
	s_wait_xcnt 0x0
	s_add_nc_u64 s[48:49], s[2:3], s[42:43]
	s_add_nc_u64 s[42:43], s[42:43], 1
	global_load_u8 v0, v1, s[48:49]
	s_cmp_lg_u32 s47, s42
	s_wait_loadcnt 0x0
	v_and_b32_e32 v0, 0xffff, v0
	s_delay_alu instid0(VALU_DEP_1) | instskip(SKIP_1) | instid1(VALU_DEP_1)
	v_lshlrev_b64_e32 v[28:29], s40, v[0:1]
	s_add_nc_u64 s[40:41], s[40:41], 8
	v_or_b32_e32 v26, v28, v26
	s_delay_alu instid0(VALU_DEP_2)
	v_or_b32_e32 v27, v29, v27
	s_cbranch_scc1 .LBB2_913
.LBB2_914:                              ;   in Loop: Header=BB2_889 Depth=2
	s_wait_xcnt 0x0
	s_mov_b64 s[40:41], s[2:3]
	s_mov_b32 s48, 0
	s_cbranch_execz .LBB2_916
	s_branch .LBB2_917
.LBB2_915:                              ;   in Loop: Header=BB2_889 Depth=2
	s_wait_xcnt 0x0
	s_add_nc_u64 s[40:41], s[2:3], 8
                                        ; implicit-def: $vgpr26_vgpr27
	s_mov_b32 s48, 0
.LBB2_916:                              ;   in Loop: Header=BB2_889 Depth=2
	global_load_b64 v[26:27], v1, s[2:3]
	s_add_co_i32 s48, s47, -8
.LBB2_917:                              ;   in Loop: Header=BB2_889 Depth=2
	s_delay_alu instid0(SALU_CYCLE_1)
	s_cmp_gt_u32 s48, 7
	s_cbranch_scc1 .LBB2_922
; %bb.918:                              ;   in Loop: Header=BB2_889 Depth=2
	v_mov_b64_e32 v[28:29], 0
	s_cmp_eq_u32 s48, 0
	s_cbranch_scc1 .LBB2_921
; %bb.919:                              ;   in Loop: Header=BB2_889 Depth=2
	s_wait_xcnt 0x0
	s_mov_b64 s[2:3], 0
	s_mov_b64 s[42:43], 0
.LBB2_920:                              ;   Parent Loop BB2_431 Depth=1
                                        ;     Parent Loop BB2_889 Depth=2
                                        ; =>    This Inner Loop Header: Depth=3
	s_wait_xcnt 0x0
	s_add_nc_u64 s[50:51], s[40:41], s[42:43]
	s_add_nc_u64 s[42:43], s[42:43], 1
	global_load_u8 v0, v1, s[50:51]
	s_cmp_lg_u32 s48, s42
	s_wait_loadcnt 0x0
	v_and_b32_e32 v0, 0xffff, v0
	s_delay_alu instid0(VALU_DEP_1) | instskip(SKIP_1) | instid1(VALU_DEP_1)
	v_lshlrev_b64_e32 v[30:31], s2, v[0:1]
	s_add_nc_u64 s[2:3], s[2:3], 8
	v_or_b32_e32 v28, v30, v28
	s_delay_alu instid0(VALU_DEP_2)
	v_or_b32_e32 v29, v31, v29
	s_cbranch_scc1 .LBB2_920
.LBB2_921:                              ;   in Loop: Header=BB2_889 Depth=2
	s_wait_xcnt 0x0
	s_mov_b64 s[2:3], s[40:41]
	s_mov_b32 s47, 0
	s_cbranch_execz .LBB2_923
	s_branch .LBB2_924
.LBB2_922:                              ;   in Loop: Header=BB2_889 Depth=2
	s_wait_xcnt 0x0
	s_add_nc_u64 s[2:3], s[40:41], 8
	s_mov_b32 s47, 0
.LBB2_923:                              ;   in Loop: Header=BB2_889 Depth=2
	global_load_b64 v[28:29], v1, s[40:41]
	s_add_co_i32 s47, s48, -8
.LBB2_924:                              ;   in Loop: Header=BB2_889 Depth=2
	s_delay_alu instid0(SALU_CYCLE_1)
	s_cmp_gt_u32 s47, 7
	s_cbranch_scc1 .LBB2_929
; %bb.925:                              ;   in Loop: Header=BB2_889 Depth=2
	v_mov_b64_e32 v[30:31], 0
	s_cmp_eq_u32 s47, 0
	s_cbranch_scc1 .LBB2_928
; %bb.926:                              ;   in Loop: Header=BB2_889 Depth=2
	s_wait_xcnt 0x0
	s_mov_b64 s[40:41], 0
	s_mov_b64 s[42:43], 0
.LBB2_927:                              ;   Parent Loop BB2_431 Depth=1
                                        ;     Parent Loop BB2_889 Depth=2
                                        ; =>    This Inner Loop Header: Depth=3
	s_wait_xcnt 0x0
	s_add_nc_u64 s[48:49], s[2:3], s[42:43]
	s_add_nc_u64 s[42:43], s[42:43], 1
	global_load_u8 v0, v1, s[48:49]
	s_cmp_lg_u32 s47, s42
	s_wait_loadcnt 0x0
	v_and_b32_e32 v0, 0xffff, v0
	s_delay_alu instid0(VALU_DEP_1) | instskip(SKIP_1) | instid1(VALU_DEP_1)
	v_lshlrev_b64_e32 v[32:33], s40, v[0:1]
	s_add_nc_u64 s[40:41], s[40:41], 8
	v_or_b32_e32 v30, v32, v30
	s_delay_alu instid0(VALU_DEP_2)
	v_or_b32_e32 v31, v33, v31
	s_cbranch_scc1 .LBB2_927
.LBB2_928:                              ;   in Loop: Header=BB2_889 Depth=2
	s_wait_xcnt 0x0
	s_mov_b64 s[40:41], s[2:3]
	s_mov_b32 s48, 0
	s_cbranch_execz .LBB2_930
	s_branch .LBB2_931
.LBB2_929:                              ;   in Loop: Header=BB2_889 Depth=2
	s_wait_xcnt 0x0
	s_add_nc_u64 s[40:41], s[2:3], 8
                                        ; implicit-def: $vgpr30_vgpr31
	s_mov_b32 s48, 0
.LBB2_930:                              ;   in Loop: Header=BB2_889 Depth=2
	global_load_b64 v[30:31], v1, s[2:3]
	s_add_co_i32 s48, s47, -8
.LBB2_931:                              ;   in Loop: Header=BB2_889 Depth=2
	s_delay_alu instid0(SALU_CYCLE_1)
	s_cmp_gt_u32 s48, 7
	s_cbranch_scc1 .LBB2_936
; %bb.932:                              ;   in Loop: Header=BB2_889 Depth=2
	v_mov_b64_e32 v[32:33], 0
	s_cmp_eq_u32 s48, 0
	s_cbranch_scc1 .LBB2_935
; %bb.933:                              ;   in Loop: Header=BB2_889 Depth=2
	s_wait_xcnt 0x0
	s_mov_b64 s[2:3], 0
	s_mov_b64 s[42:43], s[40:41]
.LBB2_934:                              ;   Parent Loop BB2_431 Depth=1
                                        ;     Parent Loop BB2_889 Depth=2
                                        ; =>    This Inner Loop Header: Depth=3
	global_load_u8 v0, v1, s[42:43]
	s_add_co_i32 s48, s48, -1
	s_wait_xcnt 0x0
	s_add_nc_u64 s[42:43], s[42:43], 1
	s_cmp_lg_u32 s48, 0
	s_wait_loadcnt 0x0
	v_and_b32_e32 v0, 0xffff, v0
	s_delay_alu instid0(VALU_DEP_1) | instskip(SKIP_1) | instid1(VALU_DEP_1)
	v_lshlrev_b64_e32 v[34:35], s2, v[0:1]
	s_add_nc_u64 s[2:3], s[2:3], 8
	v_or_b32_e32 v32, v34, v32
	s_delay_alu instid0(VALU_DEP_2)
	v_or_b32_e32 v33, v35, v33
	s_cbranch_scc1 .LBB2_934
.LBB2_935:                              ;   in Loop: Header=BB2_889 Depth=2
	s_wait_xcnt 0x0
	s_cbranch_execz .LBB2_937
	s_branch .LBB2_938
.LBB2_936:                              ;   in Loop: Header=BB2_889 Depth=2
	s_wait_xcnt 0x0
.LBB2_937:                              ;   in Loop: Header=BB2_889 Depth=2
	global_load_b64 v[32:33], v1, s[40:41]
.LBB2_938:                              ;   in Loop: Header=BB2_889 Depth=2
	v_readfirstlane_b32 s2, v46
	v_mov_b64_e32 v[42:43], 0
	s_delay_alu instid0(VALU_DEP_2)
	v_cmp_eq_u32_e64 s2, s2, v46
	s_wait_xcnt 0x0
	s_and_saveexec_b32 s3, s2
	s_cbranch_execz .LBB2_944
; %bb.939:                              ;   in Loop: Header=BB2_889 Depth=2
	global_load_b64 v[36:37], v1, s[20:21] offset:24 scope:SCOPE_SYS
	s_wait_loadcnt 0x0
	global_inv scope:SCOPE_SYS
	s_clause 0x1
	global_load_b64 v[34:35], v1, s[20:21] offset:40
	global_load_b64 v[42:43], v1, s[20:21]
	s_mov_b32 s40, exec_lo
	s_wait_loadcnt 0x1
	v_and_b32_e32 v34, v34, v36
	v_and_b32_e32 v35, v35, v37
	s_delay_alu instid0(VALU_DEP_1) | instskip(SKIP_1) | instid1(VALU_DEP_1)
	v_mul_u64_e32 v[34:35], 24, v[34:35]
	s_wait_loadcnt 0x0
	v_add_nc_u64_e32 v[34:35], v[42:43], v[34:35]
	global_load_b64 v[34:35], v[34:35], off scope:SCOPE_SYS
	s_wait_xcnt 0x0
	s_wait_loadcnt 0x0
	global_atomic_cmpswap_b64 v[42:43], v1, v[34:37], s[20:21] offset:24 th:TH_ATOMIC_RETURN scope:SCOPE_SYS
	s_wait_loadcnt 0x0
	global_inv scope:SCOPE_SYS
	s_wait_xcnt 0x0
	v_cmpx_ne_u64_e64 v[42:43], v[36:37]
	s_cbranch_execz .LBB2_943
; %bb.940:                              ;   in Loop: Header=BB2_889 Depth=2
	s_mov_b32 s41, 0
.LBB2_941:                              ;   Parent Loop BB2_431 Depth=1
                                        ;     Parent Loop BB2_889 Depth=2
                                        ; =>    This Inner Loop Header: Depth=3
	s_sleep 1
	s_clause 0x1
	global_load_b64 v[34:35], v1, s[20:21] offset:40
	global_load_b64 v[44:45], v1, s[20:21]
	v_mov_b64_e32 v[36:37], v[42:43]
	s_wait_loadcnt 0x1
	s_delay_alu instid0(VALU_DEP_1) | instskip(SKIP_1) | instid1(VALU_DEP_1)
	v_and_b32_e32 v0, v34, v36
	s_wait_loadcnt 0x0
	v_mad_nc_u64_u32 v[42:43], v0, 24, v[44:45]
	s_delay_alu instid0(VALU_DEP_3) | instskip(NEXT) | instid1(VALU_DEP_1)
	v_and_b32_e32 v0, v35, v37
	v_mad_u32 v43, v0, 24, v43
	global_load_b64 v[34:35], v[42:43], off scope:SCOPE_SYS
	s_wait_xcnt 0x0
	s_wait_loadcnt 0x0
	global_atomic_cmpswap_b64 v[42:43], v1, v[34:37], s[20:21] offset:24 th:TH_ATOMIC_RETURN scope:SCOPE_SYS
	s_wait_loadcnt 0x0
	global_inv scope:SCOPE_SYS
	v_cmp_eq_u64_e32 vcc_lo, v[42:43], v[36:37]
	s_or_b32 s41, vcc_lo, s41
	s_wait_xcnt 0x0
	s_and_not1_b32 exec_lo, exec_lo, s41
	s_cbranch_execnz .LBB2_941
; %bb.942:                              ;   in Loop: Header=BB2_889 Depth=2
	s_or_b32 exec_lo, exec_lo, s41
.LBB2_943:                              ;   in Loop: Header=BB2_889 Depth=2
	s_delay_alu instid0(SALU_CYCLE_1)
	s_or_b32 exec_lo, exec_lo, s40
.LBB2_944:                              ;   in Loop: Header=BB2_889 Depth=2
	s_delay_alu instid0(SALU_CYCLE_1)
	s_or_b32 exec_lo, exec_lo, s3
	s_clause 0x1
	global_load_b64 v[44:45], v1, s[20:21] offset:40
	global_load_b128 v[34:37], v1, s[20:21]
	v_readfirstlane_b32 s40, v42
	v_readfirstlane_b32 s41, v43
	s_mov_b32 s3, exec_lo
	s_wait_loadcnt 0x1
	v_and_b32_e32 v44, s40, v44
	v_and_b32_e32 v45, s41, v45
	s_delay_alu instid0(VALU_DEP_1) | instskip(SKIP_1) | instid1(VALU_DEP_1)
	v_mul_u64_e32 v[42:43], 24, v[44:45]
	s_wait_loadcnt 0x0
	v_add_nc_u64_e32 v[42:43], v[34:35], v[42:43]
	s_wait_xcnt 0x0
	s_and_saveexec_b32 s42, s2
	s_cbranch_execz .LBB2_946
; %bb.945:                              ;   in Loop: Header=BB2_889 Depth=2
	v_mov_b32_e32 v0, s3
	global_store_b128 v[42:43], v[0:3], off offset:8
.LBB2_946:                              ;   in Loop: Header=BB2_889 Depth=2
	s_wait_xcnt 0x0
	s_or_b32 exec_lo, exec_lo, s42
	v_cmp_lt_u64_e64 vcc_lo, s[34:35], 57
	v_lshlrev_b64_e32 v[44:45], 12, v[44:45]
	v_and_b32_e32 v5, 0xffffff1f, v16
	s_lshl_b32 s3, s38, 2
	s_delay_alu instid0(SALU_CYCLE_1) | instskip(SKIP_1) | instid1(VALU_DEP_3)
	s_add_co_i32 s3, s3, 28
	v_cndmask_b32_e32 v0, 0, v6, vcc_lo
	v_add_nc_u64_e32 v[36:37], v[36:37], v[44:45]
	s_delay_alu instid0(VALU_DEP_2) | instskip(NEXT) | instid1(VALU_DEP_2)
	v_or_b32_e32 v0, v5, v0
	v_readfirstlane_b32 s42, v36
	s_delay_alu instid0(VALU_DEP_3) | instskip(NEXT) | instid1(VALU_DEP_3)
	v_readfirstlane_b32 s43, v37
	v_and_or_b32 v16, 0x1e0, s3, v0
	s_clause 0x3
	global_store_b128 v38, v[16:19], s[42:43]
	global_store_b128 v38, v[22:25], s[42:43] offset:16
	global_store_b128 v38, v[26:29], s[42:43] offset:32
	;; [unrolled: 1-line block ×3, first 2 shown]
	s_wait_xcnt 0x0
	s_and_saveexec_b32 s3, s2
	s_cbranch_execz .LBB2_954
; %bb.947:                              ;   in Loop: Header=BB2_889 Depth=2
	s_clause 0x1
	global_load_b64 v[26:27], v1, s[20:21] offset:32 scope:SCOPE_SYS
	global_load_b64 v[16:17], v1, s[20:21] offset:40
	s_mov_b32 s42, exec_lo
	v_dual_mov_b32 v24, s40 :: v_dual_mov_b32 v25, s41
	s_wait_loadcnt 0x0
	v_and_b32_e32 v17, s41, v17
	v_and_b32_e32 v16, s40, v16
	s_delay_alu instid0(VALU_DEP_1) | instskip(NEXT) | instid1(VALU_DEP_1)
	v_mul_u64_e32 v[16:17], 24, v[16:17]
	v_add_nc_u64_e32 v[22:23], v[34:35], v[16:17]
	global_store_b64 v[22:23], v[26:27], off
	global_wb scope:SCOPE_SYS
	s_wait_storecnt 0x0
	s_wait_xcnt 0x0
	global_atomic_cmpswap_b64 v[18:19], v1, v[24:27], s[20:21] offset:32 th:TH_ATOMIC_RETURN scope:SCOPE_SYS
	s_wait_loadcnt 0x0
	v_cmpx_ne_u64_e64 v[18:19], v[26:27]
	s_cbranch_execz .LBB2_950
; %bb.948:                              ;   in Loop: Header=BB2_889 Depth=2
	s_mov_b32 s43, 0
.LBB2_949:                              ;   Parent Loop BB2_431 Depth=1
                                        ;     Parent Loop BB2_889 Depth=2
                                        ; =>    This Inner Loop Header: Depth=3
	v_dual_mov_b32 v16, s40 :: v_dual_mov_b32 v17, s41
	s_sleep 1
	global_store_b64 v[22:23], v[18:19], off
	global_wb scope:SCOPE_SYS
	s_wait_storecnt 0x0
	s_wait_xcnt 0x0
	global_atomic_cmpswap_b64 v[16:17], v1, v[16:19], s[20:21] offset:32 th:TH_ATOMIC_RETURN scope:SCOPE_SYS
	s_wait_loadcnt 0x0
	v_cmp_eq_u64_e32 vcc_lo, v[16:17], v[18:19]
	v_mov_b64_e32 v[18:19], v[16:17]
	s_or_b32 s43, vcc_lo, s43
	s_delay_alu instid0(SALU_CYCLE_1)
	s_and_not1_b32 exec_lo, exec_lo, s43
	s_cbranch_execnz .LBB2_949
.LBB2_950:                              ;   in Loop: Header=BB2_889 Depth=2
	s_or_b32 exec_lo, exec_lo, s42
	global_load_b64 v[16:17], v1, s[20:21] offset:16
	s_mov_b32 s43, exec_lo
	s_mov_b32 s42, exec_lo
	v_mbcnt_lo_u32_b32 v0, s43, 0
	s_wait_xcnt 0x0
	s_delay_alu instid0(VALU_DEP_1)
	v_cmpx_eq_u32_e32 0, v0
	s_cbranch_execz .LBB2_952
; %bb.951:                              ;   in Loop: Header=BB2_889 Depth=2
	s_bcnt1_i32_b32 s43, s43
	s_delay_alu instid0(SALU_CYCLE_1)
	v_mov_b32_e32 v0, s43
	global_wb scope:SCOPE_SYS
	s_wait_loadcnt 0x0
	s_wait_storecnt 0x0
	global_atomic_add_u64 v[16:17], v[0:1], off offset:8 scope:SCOPE_SYS
.LBB2_952:                              ;   in Loop: Header=BB2_889 Depth=2
	s_wait_xcnt 0x0
	s_or_b32 exec_lo, exec_lo, s42
	s_wait_loadcnt 0x0
	global_load_b64 v[18:19], v[16:17], off offset:16
	s_wait_loadcnt 0x0
	v_cmp_eq_u64_e32 vcc_lo, 0, v[18:19]
	s_cbranch_vccnz .LBB2_954
; %bb.953:                              ;   in Loop: Header=BB2_889 Depth=2
	global_load_b32 v0, v[16:17], off offset:24
	s_wait_loadcnt 0x0
	v_readfirstlane_b32 s42, v0
	global_wb scope:SCOPE_SYS
	s_wait_storecnt 0x0
	s_wait_xcnt 0x0
	global_store_b64 v[18:19], v[0:1], off scope:SCOPE_SYS
	s_and_b32 m0, s42, 0xffffff
	s_sendmsg sendmsg(MSG_INTERRUPT)
.LBB2_954:                              ;   in Loop: Header=BB2_889 Depth=2
	s_wait_xcnt 0x0
	s_or_b32 exec_lo, exec_lo, s3
	v_mov_b32_e32 v39, v1
	s_delay_alu instid0(VALU_DEP_1)
	v_add_nc_u64_e32 v[16:17], v[36:37], v[38:39]
	s_branch .LBB2_958
.LBB2_955:                              ;   in Loop: Header=BB2_958 Depth=3
	s_wait_xcnt 0x0
	s_or_b32 exec_lo, exec_lo, s3
	s_delay_alu instid0(VALU_DEP_1)
	v_readfirstlane_b32 s3, v0
	s_cmp_eq_u32 s3, 0
	s_cbranch_scc1 .LBB2_957
; %bb.956:                              ;   in Loop: Header=BB2_958 Depth=3
	s_sleep 1
	s_cbranch_execnz .LBB2_958
	s_branch .LBB2_960
.LBB2_957:                              ;   in Loop: Header=BB2_889 Depth=2
	s_branch .LBB2_960
.LBB2_958:                              ;   Parent Loop BB2_431 Depth=1
                                        ;     Parent Loop BB2_889 Depth=2
                                        ; =>    This Inner Loop Header: Depth=3
	v_mov_b32_e32 v0, 1
	s_and_saveexec_b32 s3, s2
	s_cbranch_execz .LBB2_955
; %bb.959:                              ;   in Loop: Header=BB2_958 Depth=3
	global_load_b32 v0, v[42:43], off offset:20 scope:SCOPE_SYS
	s_wait_loadcnt 0x0
	global_inv scope:SCOPE_SYS
	v_and_b32_e32 v0, 1, v0
	s_branch .LBB2_955
.LBB2_960:                              ;   in Loop: Header=BB2_889 Depth=2
	global_load_b64 v[16:17], v[16:17], off
	s_wait_xcnt 0x0
	s_and_saveexec_b32 s42, s2
	s_cbranch_execz .LBB2_888
; %bb.961:                              ;   in Loop: Header=BB2_889 Depth=2
	s_clause 0x2
	global_load_b64 v[18:19], v1, s[20:21] offset:40
	global_load_b64 v[26:27], v1, s[20:21] offset:24 scope:SCOPE_SYS
	global_load_b64 v[22:23], v1, s[20:21]
	s_wait_loadcnt 0x2
	v_readfirstlane_b32 s48, v18
	v_readfirstlane_b32 s49, v19
	s_add_nc_u64 s[2:3], s[48:49], 1
	s_delay_alu instid0(SALU_CYCLE_1) | instskip(NEXT) | instid1(SALU_CYCLE_1)
	s_add_nc_u64 s[40:41], s[2:3], s[40:41]
	s_cmp_eq_u64 s[40:41], 0
	s_cselect_b32 s3, s3, s41
	s_cselect_b32 s2, s2, s40
	s_delay_alu instid0(SALU_CYCLE_1) | instskip(SKIP_1) | instid1(SALU_CYCLE_1)
	v_dual_mov_b32 v25, s3 :: v_dual_mov_b32 v24, s2
	s_and_b64 s[40:41], s[2:3], s[48:49]
	s_mul_u64 s[40:41], s[40:41], 24
	s_wait_loadcnt 0x0
	v_add_nc_u64_e32 v[18:19], s[40:41], v[22:23]
	global_store_b64 v[18:19], v[26:27], off
	global_wb scope:SCOPE_SYS
	s_wait_storecnt 0x0
	s_wait_xcnt 0x0
	global_atomic_cmpswap_b64 v[24:25], v1, v[24:27], s[20:21] offset:24 th:TH_ATOMIC_RETURN scope:SCOPE_SYS
	s_wait_loadcnt 0x0
	v_cmp_ne_u64_e32 vcc_lo, v[24:25], v[26:27]
	s_and_b32 exec_lo, exec_lo, vcc_lo
	s_cbranch_execz .LBB2_888
; %bb.962:                              ;   in Loop: Header=BB2_889 Depth=2
	s_mov_b32 s40, 0
.LBB2_963:                              ;   Parent Loop BB2_431 Depth=1
                                        ;     Parent Loop BB2_889 Depth=2
                                        ; =>    This Inner Loop Header: Depth=3
	v_dual_mov_b32 v22, s2 :: v_dual_mov_b32 v23, s3
	s_sleep 1
	global_store_b64 v[18:19], v[24:25], off
	global_wb scope:SCOPE_SYS
	s_wait_storecnt 0x0
	s_wait_xcnt 0x0
	global_atomic_cmpswap_b64 v[22:23], v1, v[22:25], s[20:21] offset:24 th:TH_ATOMIC_RETURN scope:SCOPE_SYS
	s_wait_loadcnt 0x0
	v_cmp_eq_u64_e32 vcc_lo, v[22:23], v[24:25]
	v_mov_b64_e32 v[24:25], v[22:23]
	s_or_b32 s40, vcc_lo, s40
	s_delay_alu instid0(SALU_CYCLE_1)
	s_and_not1_b32 exec_lo, exec_lo, s40
	s_cbranch_execnz .LBB2_963
	s_branch .LBB2_888
.LBB2_964:                              ;   in Loop: Header=BB2_431 Depth=1
	s_branch .LBB2_993
.LBB2_965:                              ;   in Loop: Header=BB2_431 Depth=1
                                        ; implicit-def: $vgpr16_vgpr17
	s_cbranch_execz .LBB2_993
; %bb.966:                              ;   in Loop: Header=BB2_431 Depth=1
	v_readfirstlane_b32 s2, v46
	v_mov_b64_e32 v[6:7], 0
	s_delay_alu instid0(VALU_DEP_2)
	v_cmp_eq_u32_e64 s2, s2, v46
	s_and_saveexec_b32 s3, s2
	s_cbranch_execz .LBB2_972
; %bb.967:                              ;   in Loop: Header=BB2_431 Depth=1
	global_load_b64 v[18:19], v1, s[20:21] offset:24 scope:SCOPE_SYS
	s_wait_loadcnt 0x0
	global_inv scope:SCOPE_SYS
	s_clause 0x1
	global_load_b64 v[6:7], v1, s[20:21] offset:40
	global_load_b64 v[16:17], v1, s[20:21]
	s_mov_b32 s34, exec_lo
	s_wait_loadcnt 0x1
	v_and_b32_e32 v6, v6, v18
	v_and_b32_e32 v7, v7, v19
	s_delay_alu instid0(VALU_DEP_1) | instskip(SKIP_1) | instid1(VALU_DEP_1)
	v_mul_u64_e32 v[6:7], 24, v[6:7]
	s_wait_loadcnt 0x0
	v_add_nc_u64_e32 v[6:7], v[16:17], v[6:7]
	global_load_b64 v[16:17], v[6:7], off scope:SCOPE_SYS
	s_wait_xcnt 0x0
	s_wait_loadcnt 0x0
	global_atomic_cmpswap_b64 v[6:7], v1, v[16:19], s[20:21] offset:24 th:TH_ATOMIC_RETURN scope:SCOPE_SYS
	s_wait_loadcnt 0x0
	global_inv scope:SCOPE_SYS
	s_wait_xcnt 0x0
	v_cmpx_ne_u64_e64 v[6:7], v[18:19]
	s_cbranch_execz .LBB2_971
; %bb.968:                              ;   in Loop: Header=BB2_431 Depth=1
	s_mov_b32 s35, 0
.LBB2_969:                              ;   Parent Loop BB2_431 Depth=1
                                        ; =>  This Inner Loop Header: Depth=2
	s_sleep 1
	s_clause 0x1
	global_load_b64 v[16:17], v1, s[20:21] offset:40
	global_load_b64 v[22:23], v1, s[20:21]
	v_mov_b64_e32 v[18:19], v[6:7]
	s_wait_loadcnt 0x1
	s_delay_alu instid0(VALU_DEP_1) | instskip(SKIP_1) | instid1(VALU_DEP_1)
	v_and_b32_e32 v0, v16, v18
	s_wait_loadcnt 0x0
	v_mad_nc_u64_u32 v[6:7], v0, 24, v[22:23]
	s_delay_alu instid0(VALU_DEP_3) | instskip(NEXT) | instid1(VALU_DEP_1)
	v_and_b32_e32 v0, v17, v19
	v_mad_u32 v7, v0, 24, v7
	global_load_b64 v[16:17], v[6:7], off scope:SCOPE_SYS
	s_wait_xcnt 0x0
	s_wait_loadcnt 0x0
	global_atomic_cmpswap_b64 v[6:7], v1, v[16:19], s[20:21] offset:24 th:TH_ATOMIC_RETURN scope:SCOPE_SYS
	s_wait_loadcnt 0x0
	global_inv scope:SCOPE_SYS
	v_cmp_eq_u64_e32 vcc_lo, v[6:7], v[18:19]
	s_or_b32 s35, vcc_lo, s35
	s_wait_xcnt 0x0
	s_and_not1_b32 exec_lo, exec_lo, s35
	s_cbranch_execnz .LBB2_969
; %bb.970:                              ;   in Loop: Header=BB2_431 Depth=1
	s_or_b32 exec_lo, exec_lo, s35
.LBB2_971:                              ;   in Loop: Header=BB2_431 Depth=1
	s_delay_alu instid0(SALU_CYCLE_1)
	s_or_b32 exec_lo, exec_lo, s34
.LBB2_972:                              ;   in Loop: Header=BB2_431 Depth=1
	s_delay_alu instid0(SALU_CYCLE_1)
	s_or_b32 exec_lo, exec_lo, s3
	global_load_b64 v[22:23], v1, s[20:21] offset:40
	s_wait_loadcnt 0x1
	global_load_b128 v[16:19], v1, s[20:21]
	v_readfirstlane_b32 s34, v6
	v_readfirstlane_b32 s35, v7
	s_mov_b32 s3, exec_lo
	s_wait_loadcnt 0x1
	v_and_b32_e32 v22, s34, v22
	v_and_b32_e32 v23, s35, v23
	s_delay_alu instid0(VALU_DEP_1) | instskip(SKIP_1) | instid1(VALU_DEP_1)
	v_mul_u64_e32 v[6:7], 24, v[22:23]
	s_wait_loadcnt 0x0
	v_add_nc_u64_e32 v[6:7], v[16:17], v[6:7]
	s_wait_xcnt 0x0
	s_and_saveexec_b32 s36, s2
	s_cbranch_execz .LBB2_974
; %bb.973:                              ;   in Loop: Header=BB2_431 Depth=1
	v_mov_b32_e32 v0, s3
	global_store_b128 v[6:7], v[0:3], off offset:8
.LBB2_974:                              ;   in Loop: Header=BB2_431 Depth=1
	s_wait_xcnt 0x0
	s_or_b32 exec_lo, exec_lo, s36
	v_lshlrev_b64_e32 v[22:23], 12, v[22:23]
	v_mov_b64_e32 v[28:29], s[10:11]
	v_mov_b64_e32 v[26:27], s[8:9]
	v_and_or_b32 v20, 0xffffff1f, v20, 32
	s_delay_alu instid0(VALU_DEP_4) | instskip(SKIP_1) | instid1(VALU_DEP_2)
	v_add_nc_u64_e32 v[24:25], v[18:19], v[22:23]
	v_dual_mov_b32 v22, v1 :: v_dual_mov_b32 v23, v1
	v_readfirstlane_b32 s36, v24
	s_delay_alu instid0(VALU_DEP_3)
	v_readfirstlane_b32 s37, v25
	s_clause 0x3
	global_store_b128 v38, v[20:23], s[36:37]
	global_store_b128 v38, v[26:29], s[36:37] offset:16
	global_store_b128 v38, v[26:29], s[36:37] offset:32
	;; [unrolled: 1-line block ×3, first 2 shown]
	s_wait_xcnt 0x0
	s_and_saveexec_b32 s3, s2
	s_cbranch_execz .LBB2_982
; %bb.975:                              ;   in Loop: Header=BB2_431 Depth=1
	s_clause 0x1
	global_load_b64 v[28:29], v1, s[20:21] offset:32 scope:SCOPE_SYS
	global_load_b64 v[18:19], v1, s[20:21] offset:40
	s_mov_b32 s36, exec_lo
	v_dual_mov_b32 v26, s34 :: v_dual_mov_b32 v27, s35
	s_wait_loadcnt 0x0
	v_and_b32_e32 v19, s35, v19
	v_and_b32_e32 v18, s34, v18
	s_delay_alu instid0(VALU_DEP_1) | instskip(NEXT) | instid1(VALU_DEP_1)
	v_mul_u64_e32 v[18:19], 24, v[18:19]
	v_add_nc_u64_e32 v[20:21], v[16:17], v[18:19]
	global_store_b64 v[20:21], v[28:29], off
	global_wb scope:SCOPE_SYS
	s_wait_storecnt 0x0
	s_wait_xcnt 0x0
	global_atomic_cmpswap_b64 v[18:19], v1, v[26:29], s[20:21] offset:32 th:TH_ATOMIC_RETURN scope:SCOPE_SYS
	s_wait_loadcnt 0x0
	v_cmpx_ne_u64_e64 v[18:19], v[28:29]
	s_cbranch_execz .LBB2_978
; %bb.976:                              ;   in Loop: Header=BB2_431 Depth=1
	s_mov_b32 s37, 0
.LBB2_977:                              ;   Parent Loop BB2_431 Depth=1
                                        ; =>  This Inner Loop Header: Depth=2
	v_dual_mov_b32 v16, s34 :: v_dual_mov_b32 v17, s35
	s_sleep 1
	global_store_b64 v[20:21], v[18:19], off
	global_wb scope:SCOPE_SYS
	s_wait_storecnt 0x0
	s_wait_xcnt 0x0
	global_atomic_cmpswap_b64 v[16:17], v1, v[16:19], s[20:21] offset:32 th:TH_ATOMIC_RETURN scope:SCOPE_SYS
	s_wait_loadcnt 0x0
	v_cmp_eq_u64_e32 vcc_lo, v[16:17], v[18:19]
	v_mov_b64_e32 v[18:19], v[16:17]
	s_or_b32 s37, vcc_lo, s37
	s_delay_alu instid0(SALU_CYCLE_1)
	s_and_not1_b32 exec_lo, exec_lo, s37
	s_cbranch_execnz .LBB2_977
.LBB2_978:                              ;   in Loop: Header=BB2_431 Depth=1
	s_or_b32 exec_lo, exec_lo, s36
	global_load_b64 v[16:17], v1, s[20:21] offset:16
	s_mov_b32 s37, exec_lo
	s_mov_b32 s36, exec_lo
	v_mbcnt_lo_u32_b32 v0, s37, 0
	s_wait_xcnt 0x0
	s_delay_alu instid0(VALU_DEP_1)
	v_cmpx_eq_u32_e32 0, v0
	s_cbranch_execz .LBB2_980
; %bb.979:                              ;   in Loop: Header=BB2_431 Depth=1
	s_bcnt1_i32_b32 s37, s37
	s_delay_alu instid0(SALU_CYCLE_1)
	v_mov_b32_e32 v0, s37
	global_wb scope:SCOPE_SYS
	s_wait_loadcnt 0x0
	s_wait_storecnt 0x0
	global_atomic_add_u64 v[16:17], v[0:1], off offset:8 scope:SCOPE_SYS
.LBB2_980:                              ;   in Loop: Header=BB2_431 Depth=1
	s_wait_xcnt 0x0
	s_or_b32 exec_lo, exec_lo, s36
	s_wait_loadcnt 0x0
	global_load_b64 v[18:19], v[16:17], off offset:16
	s_wait_loadcnt 0x0
	v_cmp_eq_u64_e32 vcc_lo, 0, v[18:19]
	s_cbranch_vccnz .LBB2_982
; %bb.981:                              ;   in Loop: Header=BB2_431 Depth=1
	global_load_b32 v0, v[16:17], off offset:24
	s_wait_loadcnt 0x0
	v_readfirstlane_b32 s36, v0
	global_wb scope:SCOPE_SYS
	s_wait_storecnt 0x0
	s_wait_xcnt 0x0
	global_store_b64 v[18:19], v[0:1], off scope:SCOPE_SYS
	s_and_b32 m0, s36, 0xffffff
	s_sendmsg sendmsg(MSG_INTERRUPT)
.LBB2_982:                              ;   in Loop: Header=BB2_431 Depth=1
	s_wait_xcnt 0x0
	s_or_b32 exec_lo, exec_lo, s3
	v_mov_b32_e32 v39, v1
	s_delay_alu instid0(VALU_DEP_1)
	v_add_nc_u64_e32 v[16:17], v[24:25], v[38:39]
	s_branch .LBB2_986
.LBB2_983:                              ;   in Loop: Header=BB2_986 Depth=2
	s_wait_xcnt 0x0
	s_or_b32 exec_lo, exec_lo, s3
	s_delay_alu instid0(VALU_DEP_1)
	v_readfirstlane_b32 s3, v0
	s_cmp_eq_u32 s3, 0
	s_cbranch_scc1 .LBB2_985
; %bb.984:                              ;   in Loop: Header=BB2_986 Depth=2
	s_sleep 1
	s_cbranch_execnz .LBB2_986
	s_branch .LBB2_988
.LBB2_985:                              ;   in Loop: Header=BB2_431 Depth=1
	s_branch .LBB2_988
.LBB2_986:                              ;   Parent Loop BB2_431 Depth=1
                                        ; =>  This Inner Loop Header: Depth=2
	v_mov_b32_e32 v0, 1
	s_and_saveexec_b32 s3, s2
	s_cbranch_execz .LBB2_983
; %bb.987:                              ;   in Loop: Header=BB2_986 Depth=2
	global_load_b32 v0, v[6:7], off offset:20 scope:SCOPE_SYS
	s_wait_loadcnt 0x0
	global_inv scope:SCOPE_SYS
	v_and_b32_e32 v0, 1, v0
	s_branch .LBB2_983
.LBB2_988:                              ;   in Loop: Header=BB2_431 Depth=1
	global_load_b64 v[16:17], v[16:17], off
	s_wait_xcnt 0x0
	s_and_saveexec_b32 s36, s2
	s_cbranch_execz .LBB2_992
; %bb.989:                              ;   in Loop: Header=BB2_431 Depth=1
	s_clause 0x2
	global_load_b64 v[6:7], v1, s[20:21] offset:40
	global_load_b64 v[22:23], v1, s[20:21] offset:24 scope:SCOPE_SYS
	global_load_b64 v[18:19], v1, s[20:21]
	s_wait_loadcnt 0x2
	v_readfirstlane_b32 s38, v6
	v_readfirstlane_b32 s39, v7
	s_add_nc_u64 s[2:3], s[38:39], 1
	s_delay_alu instid0(SALU_CYCLE_1) | instskip(NEXT) | instid1(SALU_CYCLE_1)
	s_add_nc_u64 s[34:35], s[2:3], s[34:35]
	s_cmp_eq_u64 s[34:35], 0
	s_cselect_b32 s3, s3, s35
	s_cselect_b32 s2, s2, s34
	s_delay_alu instid0(SALU_CYCLE_1) | instskip(SKIP_1) | instid1(SALU_CYCLE_1)
	v_dual_mov_b32 v21, s3 :: v_dual_mov_b32 v20, s2
	s_and_b64 s[34:35], s[2:3], s[38:39]
	s_mul_u64 s[34:35], s[34:35], 24
	s_wait_loadcnt 0x0
	v_add_nc_u64_e32 v[6:7], s[34:35], v[18:19]
	global_store_b64 v[6:7], v[22:23], off
	global_wb scope:SCOPE_SYS
	s_wait_storecnt 0x0
	s_wait_xcnt 0x0
	global_atomic_cmpswap_b64 v[20:21], v1, v[20:23], s[20:21] offset:24 th:TH_ATOMIC_RETURN scope:SCOPE_SYS
	s_wait_loadcnt 0x0
	v_cmp_ne_u64_e32 vcc_lo, v[20:21], v[22:23]
	s_and_b32 exec_lo, exec_lo, vcc_lo
	s_cbranch_execz .LBB2_992
; %bb.990:                              ;   in Loop: Header=BB2_431 Depth=1
	s_mov_b32 s34, 0
.LBB2_991:                              ;   Parent Loop BB2_431 Depth=1
                                        ; =>  This Inner Loop Header: Depth=2
	v_dual_mov_b32 v18, s2 :: v_dual_mov_b32 v19, s3
	s_sleep 1
	global_store_b64 v[6:7], v[20:21], off
	global_wb scope:SCOPE_SYS
	s_wait_storecnt 0x0
	s_wait_xcnt 0x0
	global_atomic_cmpswap_b64 v[18:19], v1, v[18:21], s[20:21] offset:24 th:TH_ATOMIC_RETURN scope:SCOPE_SYS
	s_wait_loadcnt 0x0
	v_cmp_eq_u64_e32 vcc_lo, v[18:19], v[20:21]
	v_mov_b64_e32 v[20:21], v[18:19]
	s_or_b32 s34, vcc_lo, s34
	s_delay_alu instid0(SALU_CYCLE_1)
	s_and_not1_b32 exec_lo, exec_lo, s34
	s_cbranch_execnz .LBB2_991
.LBB2_992:                              ;   in Loop: Header=BB2_431 Depth=1
	s_or_b32 exec_lo, exec_lo, s36
.LBB2_993:                              ;   in Loop: Header=BB2_431 Depth=1
	s_bitcmp0_b32 s46, 0
	s_mov_b64 s[36:37], 0
	s_cselect_b32 s35, s25, s23
	s_cselect_b32 s34, s24, s22
	s_delay_alu instid0(SALU_CYCLE_1)
	s_cmp_lg_u64 s[34:35], 0
	s_cselect_b32 s38, -1, 0
	s_cmp_eq_u64 s[34:35], 0
	s_cbranch_scc1 .LBB2_997
; %bb.994:                              ;   in Loop: Header=BB2_431 Depth=1
	s_add_nc_u64 s[2:3], s[34:35], -1
.LBB2_995:                              ;   Parent Loop BB2_431 Depth=1
                                        ; =>  This Inner Loop Header: Depth=2
	s_load_u8 s36, s[2:3], 0x1
	s_wait_xcnt 0x0
	s_add_nc_u64 s[2:3], s[2:3], 1
	s_wait_kmcnt 0x0
	s_cmp_lg_u32 s36, 0
	s_cbranch_scc1 .LBB2_995
; %bb.996:                              ;   in Loop: Header=BB2_431 Depth=1
	s_sub_nc_u64 s[2:3], s[2:3], s[34:35]
	s_delay_alu instid0(SALU_CYCLE_1)
	s_add_nc_u64 s[36:37], s[2:3], 1
.LBB2_997:                              ;   in Loop: Header=BB2_431 Depth=1
	s_and_b32 vcc_lo, exec_lo, s38
	s_cbranch_vccz .LBB2_1076
; %bb.998:                              ;   in Loop: Header=BB2_431 Depth=1
	s_wait_loadcnt 0x0
	v_dual_mov_b32 v19, v17 :: v_dual_bitop2_b32 v6, 2, v16 bitop3:0x40
	v_and_b32_e32 v18, -3, v16
	s_branch .LBB2_1000
.LBB2_999:                              ;   in Loop: Header=BB2_1000 Depth=2
	s_or_b32 exec_lo, exec_lo, s42
	s_sub_nc_u64 s[36:37], s[36:37], s[38:39]
	s_add_nc_u64 s[34:35], s[34:35], s[38:39]
	s_cmp_lg_u64 s[36:37], 0
	s_cbranch_scc0 .LBB2_1075
.LBB2_1000:                             ;   Parent Loop BB2_431 Depth=1
                                        ; =>  This Loop Header: Depth=2
                                        ;       Child Loop BB2_1003 Depth 3
                                        ;       Child Loop BB2_1010 Depth 3
	;; [unrolled: 1-line block ×11, first 2 shown]
	v_min_u64 v[20:21], s[36:37], 56
	v_cmp_gt_u64_e64 s2, s[36:37], 7
	s_and_b32 vcc_lo, exec_lo, s2
	v_readfirstlane_b32 s38, v20
	v_readfirstlane_b32 s39, v21
	s_cbranch_vccnz .LBB2_1005
; %bb.1001:                             ;   in Loop: Header=BB2_1000 Depth=2
	v_mov_b64_e32 v[20:21], 0
	s_cmp_eq_u64 s[36:37], 0
	s_cbranch_scc1 .LBB2_1004
; %bb.1002:                             ;   in Loop: Header=BB2_1000 Depth=2
	s_mov_b64 s[2:3], 0
	s_mov_b64 s[40:41], 0
.LBB2_1003:                             ;   Parent Loop BB2_431 Depth=1
                                        ;     Parent Loop BB2_1000 Depth=2
                                        ; =>    This Inner Loop Header: Depth=3
	s_wait_xcnt 0x0
	s_add_nc_u64 s[42:43], s[34:35], s[40:41]
	s_add_nc_u64 s[40:41], s[40:41], 1
	global_load_u8 v0, v1, s[42:43]
	s_cmp_lg_u32 s38, s40
	s_wait_loadcnt 0x0
	v_and_b32_e32 v0, 0xffff, v0
	s_delay_alu instid0(VALU_DEP_1) | instskip(SKIP_1) | instid1(VALU_DEP_1)
	v_lshlrev_b64_e32 v[22:23], s2, v[0:1]
	s_add_nc_u64 s[2:3], s[2:3], 8
	v_or_b32_e32 v20, v22, v20
	s_delay_alu instid0(VALU_DEP_2)
	v_or_b32_e32 v21, v23, v21
	s_cbranch_scc1 .LBB2_1003
.LBB2_1004:                             ;   in Loop: Header=BB2_1000 Depth=2
	s_mov_b64 s[2:3], s[34:35]
	s_mov_b32 s47, 0
	s_cbranch_execz .LBB2_1006
	s_branch .LBB2_1007
.LBB2_1005:                             ;   in Loop: Header=BB2_1000 Depth=2
	s_add_nc_u64 s[2:3], s[34:35], 8
	s_mov_b32 s47, 0
.LBB2_1006:                             ;   in Loop: Header=BB2_1000 Depth=2
	global_load_b64 v[20:21], v1, s[34:35]
	s_add_co_i32 s47, s38, -8
.LBB2_1007:                             ;   in Loop: Header=BB2_1000 Depth=2
	s_delay_alu instid0(SALU_CYCLE_1)
	s_cmp_gt_u32 s47, 7
	s_cbranch_scc1 .LBB2_1012
; %bb.1008:                             ;   in Loop: Header=BB2_1000 Depth=2
	v_mov_b64_e32 v[22:23], 0
	s_cmp_eq_u32 s47, 0
	s_cbranch_scc1 .LBB2_1011
; %bb.1009:                             ;   in Loop: Header=BB2_1000 Depth=2
	s_mov_b64 s[40:41], 0
	s_wait_xcnt 0x0
	s_mov_b64 s[42:43], 0
.LBB2_1010:                             ;   Parent Loop BB2_431 Depth=1
                                        ;     Parent Loop BB2_1000 Depth=2
                                        ; =>    This Inner Loop Header: Depth=3
	s_wait_xcnt 0x0
	s_add_nc_u64 s[48:49], s[2:3], s[42:43]
	s_add_nc_u64 s[42:43], s[42:43], 1
	global_load_u8 v0, v1, s[48:49]
	s_cmp_lg_u32 s47, s42
	s_wait_loadcnt 0x0
	v_and_b32_e32 v0, 0xffff, v0
	s_delay_alu instid0(VALU_DEP_1) | instskip(SKIP_1) | instid1(VALU_DEP_1)
	v_lshlrev_b64_e32 v[24:25], s40, v[0:1]
	s_add_nc_u64 s[40:41], s[40:41], 8
	v_or_b32_e32 v22, v24, v22
	s_delay_alu instid0(VALU_DEP_2)
	v_or_b32_e32 v23, v25, v23
	s_cbranch_scc1 .LBB2_1010
.LBB2_1011:                             ;   in Loop: Header=BB2_1000 Depth=2
	s_wait_xcnt 0x0
	s_mov_b64 s[40:41], s[2:3]
	s_mov_b32 s48, 0
	s_cbranch_execz .LBB2_1013
	s_branch .LBB2_1014
.LBB2_1012:                             ;   in Loop: Header=BB2_1000 Depth=2
	s_add_nc_u64 s[40:41], s[2:3], 8
	s_wait_xcnt 0x0
                                        ; implicit-def: $vgpr22_vgpr23
	s_mov_b32 s48, 0
.LBB2_1013:                             ;   in Loop: Header=BB2_1000 Depth=2
	global_load_b64 v[22:23], v1, s[2:3]
	s_add_co_i32 s48, s47, -8
.LBB2_1014:                             ;   in Loop: Header=BB2_1000 Depth=2
	s_delay_alu instid0(SALU_CYCLE_1)
	s_cmp_gt_u32 s48, 7
	s_cbranch_scc1 .LBB2_1019
; %bb.1015:                             ;   in Loop: Header=BB2_1000 Depth=2
	v_mov_b64_e32 v[24:25], 0
	s_cmp_eq_u32 s48, 0
	s_cbranch_scc1 .LBB2_1018
; %bb.1016:                             ;   in Loop: Header=BB2_1000 Depth=2
	s_wait_xcnt 0x0
	s_mov_b64 s[2:3], 0
	s_mov_b64 s[42:43], 0
.LBB2_1017:                             ;   Parent Loop BB2_431 Depth=1
                                        ;     Parent Loop BB2_1000 Depth=2
                                        ; =>    This Inner Loop Header: Depth=3
	s_wait_xcnt 0x0
	s_add_nc_u64 s[50:51], s[40:41], s[42:43]
	s_add_nc_u64 s[42:43], s[42:43], 1
	global_load_u8 v0, v1, s[50:51]
	s_cmp_lg_u32 s48, s42
	s_wait_loadcnt 0x0
	v_and_b32_e32 v0, 0xffff, v0
	s_delay_alu instid0(VALU_DEP_1) | instskip(SKIP_1) | instid1(VALU_DEP_1)
	v_lshlrev_b64_e32 v[26:27], s2, v[0:1]
	s_add_nc_u64 s[2:3], s[2:3], 8
	v_or_b32_e32 v24, v26, v24
	s_delay_alu instid0(VALU_DEP_2)
	v_or_b32_e32 v25, v27, v25
	s_cbranch_scc1 .LBB2_1017
.LBB2_1018:                             ;   in Loop: Header=BB2_1000 Depth=2
	s_wait_xcnt 0x0
	s_mov_b64 s[2:3], s[40:41]
	s_mov_b32 s47, 0
	s_cbranch_execz .LBB2_1020
	s_branch .LBB2_1021
.LBB2_1019:                             ;   in Loop: Header=BB2_1000 Depth=2
	s_wait_xcnt 0x0
	s_add_nc_u64 s[2:3], s[40:41], 8
	s_mov_b32 s47, 0
.LBB2_1020:                             ;   in Loop: Header=BB2_1000 Depth=2
	global_load_b64 v[24:25], v1, s[40:41]
	s_add_co_i32 s47, s48, -8
.LBB2_1021:                             ;   in Loop: Header=BB2_1000 Depth=2
	s_delay_alu instid0(SALU_CYCLE_1)
	s_cmp_gt_u32 s47, 7
	s_cbranch_scc1 .LBB2_1026
; %bb.1022:                             ;   in Loop: Header=BB2_1000 Depth=2
	v_mov_b64_e32 v[26:27], 0
	s_cmp_eq_u32 s47, 0
	s_cbranch_scc1 .LBB2_1025
; %bb.1023:                             ;   in Loop: Header=BB2_1000 Depth=2
	s_wait_xcnt 0x0
	s_mov_b64 s[40:41], 0
	s_mov_b64 s[42:43], 0
.LBB2_1024:                             ;   Parent Loop BB2_431 Depth=1
                                        ;     Parent Loop BB2_1000 Depth=2
                                        ; =>    This Inner Loop Header: Depth=3
	s_wait_xcnt 0x0
	s_add_nc_u64 s[48:49], s[2:3], s[42:43]
	s_add_nc_u64 s[42:43], s[42:43], 1
	global_load_u8 v0, v1, s[48:49]
	s_cmp_lg_u32 s47, s42
	s_wait_loadcnt 0x0
	v_and_b32_e32 v0, 0xffff, v0
	s_delay_alu instid0(VALU_DEP_1) | instskip(SKIP_1) | instid1(VALU_DEP_1)
	v_lshlrev_b64_e32 v[28:29], s40, v[0:1]
	s_add_nc_u64 s[40:41], s[40:41], 8
	v_or_b32_e32 v26, v28, v26
	s_delay_alu instid0(VALU_DEP_2)
	v_or_b32_e32 v27, v29, v27
	s_cbranch_scc1 .LBB2_1024
.LBB2_1025:                             ;   in Loop: Header=BB2_1000 Depth=2
	s_wait_xcnt 0x0
	s_mov_b64 s[40:41], s[2:3]
	s_mov_b32 s48, 0
	s_cbranch_execz .LBB2_1027
	s_branch .LBB2_1028
.LBB2_1026:                             ;   in Loop: Header=BB2_1000 Depth=2
	s_wait_xcnt 0x0
	s_add_nc_u64 s[40:41], s[2:3], 8
                                        ; implicit-def: $vgpr26_vgpr27
	s_mov_b32 s48, 0
.LBB2_1027:                             ;   in Loop: Header=BB2_1000 Depth=2
	global_load_b64 v[26:27], v1, s[2:3]
	s_add_co_i32 s48, s47, -8
.LBB2_1028:                             ;   in Loop: Header=BB2_1000 Depth=2
	s_delay_alu instid0(SALU_CYCLE_1)
	s_cmp_gt_u32 s48, 7
	s_cbranch_scc1 .LBB2_1033
; %bb.1029:                             ;   in Loop: Header=BB2_1000 Depth=2
	v_mov_b64_e32 v[28:29], 0
	s_cmp_eq_u32 s48, 0
	s_cbranch_scc1 .LBB2_1032
; %bb.1030:                             ;   in Loop: Header=BB2_1000 Depth=2
	s_wait_xcnt 0x0
	s_mov_b64 s[2:3], 0
	s_mov_b64 s[42:43], 0
.LBB2_1031:                             ;   Parent Loop BB2_431 Depth=1
                                        ;     Parent Loop BB2_1000 Depth=2
                                        ; =>    This Inner Loop Header: Depth=3
	s_wait_xcnt 0x0
	s_add_nc_u64 s[50:51], s[40:41], s[42:43]
	s_add_nc_u64 s[42:43], s[42:43], 1
	global_load_u8 v0, v1, s[50:51]
	s_cmp_lg_u32 s48, s42
	s_wait_loadcnt 0x0
	v_and_b32_e32 v0, 0xffff, v0
	s_delay_alu instid0(VALU_DEP_1) | instskip(SKIP_1) | instid1(VALU_DEP_1)
	v_lshlrev_b64_e32 v[30:31], s2, v[0:1]
	s_add_nc_u64 s[2:3], s[2:3], 8
	v_or_b32_e32 v28, v30, v28
	s_delay_alu instid0(VALU_DEP_2)
	v_or_b32_e32 v29, v31, v29
	s_cbranch_scc1 .LBB2_1031
.LBB2_1032:                             ;   in Loop: Header=BB2_1000 Depth=2
	s_wait_xcnt 0x0
	s_mov_b64 s[2:3], s[40:41]
	s_mov_b32 s47, 0
	s_cbranch_execz .LBB2_1034
	s_branch .LBB2_1035
.LBB2_1033:                             ;   in Loop: Header=BB2_1000 Depth=2
	s_wait_xcnt 0x0
	s_add_nc_u64 s[2:3], s[40:41], 8
	s_mov_b32 s47, 0
.LBB2_1034:                             ;   in Loop: Header=BB2_1000 Depth=2
	global_load_b64 v[28:29], v1, s[40:41]
	s_add_co_i32 s47, s48, -8
.LBB2_1035:                             ;   in Loop: Header=BB2_1000 Depth=2
	s_delay_alu instid0(SALU_CYCLE_1)
	s_cmp_gt_u32 s47, 7
	s_cbranch_scc1 .LBB2_1040
; %bb.1036:                             ;   in Loop: Header=BB2_1000 Depth=2
	v_mov_b64_e32 v[30:31], 0
	s_cmp_eq_u32 s47, 0
	s_cbranch_scc1 .LBB2_1039
; %bb.1037:                             ;   in Loop: Header=BB2_1000 Depth=2
	s_wait_xcnt 0x0
	s_mov_b64 s[40:41], 0
	s_mov_b64 s[42:43], 0
.LBB2_1038:                             ;   Parent Loop BB2_431 Depth=1
                                        ;     Parent Loop BB2_1000 Depth=2
                                        ; =>    This Inner Loop Header: Depth=3
	s_wait_xcnt 0x0
	s_add_nc_u64 s[48:49], s[2:3], s[42:43]
	s_add_nc_u64 s[42:43], s[42:43], 1
	global_load_u8 v0, v1, s[48:49]
	s_cmp_lg_u32 s47, s42
	s_wait_loadcnt 0x0
	v_and_b32_e32 v0, 0xffff, v0
	s_delay_alu instid0(VALU_DEP_1) | instskip(SKIP_1) | instid1(VALU_DEP_1)
	v_lshlrev_b64_e32 v[32:33], s40, v[0:1]
	s_add_nc_u64 s[40:41], s[40:41], 8
	v_or_b32_e32 v30, v32, v30
	s_delay_alu instid0(VALU_DEP_2)
	v_or_b32_e32 v31, v33, v31
	s_cbranch_scc1 .LBB2_1038
.LBB2_1039:                             ;   in Loop: Header=BB2_1000 Depth=2
	s_wait_xcnt 0x0
	s_mov_b64 s[40:41], s[2:3]
	s_mov_b32 s48, 0
	s_cbranch_execz .LBB2_1041
	s_branch .LBB2_1042
.LBB2_1040:                             ;   in Loop: Header=BB2_1000 Depth=2
	s_wait_xcnt 0x0
	s_add_nc_u64 s[40:41], s[2:3], 8
                                        ; implicit-def: $vgpr30_vgpr31
	s_mov_b32 s48, 0
.LBB2_1041:                             ;   in Loop: Header=BB2_1000 Depth=2
	global_load_b64 v[30:31], v1, s[2:3]
	s_add_co_i32 s48, s47, -8
.LBB2_1042:                             ;   in Loop: Header=BB2_1000 Depth=2
	s_delay_alu instid0(SALU_CYCLE_1)
	s_cmp_gt_u32 s48, 7
	s_cbranch_scc1 .LBB2_1047
; %bb.1043:                             ;   in Loop: Header=BB2_1000 Depth=2
	v_mov_b64_e32 v[32:33], 0
	s_cmp_eq_u32 s48, 0
	s_cbranch_scc1 .LBB2_1046
; %bb.1044:                             ;   in Loop: Header=BB2_1000 Depth=2
	s_wait_xcnt 0x0
	s_mov_b64 s[2:3], 0
	s_mov_b64 s[42:43], s[40:41]
.LBB2_1045:                             ;   Parent Loop BB2_431 Depth=1
                                        ;     Parent Loop BB2_1000 Depth=2
                                        ; =>    This Inner Loop Header: Depth=3
	global_load_u8 v0, v1, s[42:43]
	s_add_co_i32 s48, s48, -1
	s_wait_xcnt 0x0
	s_add_nc_u64 s[42:43], s[42:43], 1
	s_cmp_lg_u32 s48, 0
	s_wait_loadcnt 0x0
	v_and_b32_e32 v0, 0xffff, v0
	s_delay_alu instid0(VALU_DEP_1) | instskip(SKIP_1) | instid1(VALU_DEP_1)
	v_lshlrev_b64_e32 v[34:35], s2, v[0:1]
	s_add_nc_u64 s[2:3], s[2:3], 8
	v_or_b32_e32 v32, v34, v32
	s_delay_alu instid0(VALU_DEP_2)
	v_or_b32_e32 v33, v35, v33
	s_cbranch_scc1 .LBB2_1045
.LBB2_1046:                             ;   in Loop: Header=BB2_1000 Depth=2
	s_wait_xcnt 0x0
	s_cbranch_execz .LBB2_1048
	s_branch .LBB2_1049
.LBB2_1047:                             ;   in Loop: Header=BB2_1000 Depth=2
	s_wait_xcnt 0x0
.LBB2_1048:                             ;   in Loop: Header=BB2_1000 Depth=2
	global_load_b64 v[32:33], v1, s[40:41]
.LBB2_1049:                             ;   in Loop: Header=BB2_1000 Depth=2
	v_readfirstlane_b32 s2, v46
	v_mov_b64_e32 v[42:43], 0
	s_delay_alu instid0(VALU_DEP_2)
	v_cmp_eq_u32_e64 s2, s2, v46
	s_wait_xcnt 0x0
	s_and_saveexec_b32 s3, s2
	s_cbranch_execz .LBB2_1055
; %bb.1050:                             ;   in Loop: Header=BB2_1000 Depth=2
	global_load_b64 v[36:37], v1, s[20:21] offset:24 scope:SCOPE_SYS
	s_wait_loadcnt 0x0
	global_inv scope:SCOPE_SYS
	s_clause 0x1
	global_load_b64 v[34:35], v1, s[20:21] offset:40
	global_load_b64 v[42:43], v1, s[20:21]
	s_mov_b32 s40, exec_lo
	s_wait_loadcnt 0x1
	v_and_b32_e32 v34, v34, v36
	v_and_b32_e32 v35, v35, v37
	s_delay_alu instid0(VALU_DEP_1) | instskip(SKIP_1) | instid1(VALU_DEP_1)
	v_mul_u64_e32 v[34:35], 24, v[34:35]
	s_wait_loadcnt 0x0
	v_add_nc_u64_e32 v[34:35], v[42:43], v[34:35]
	global_load_b64 v[34:35], v[34:35], off scope:SCOPE_SYS
	s_wait_xcnt 0x0
	s_wait_loadcnt 0x0
	global_atomic_cmpswap_b64 v[42:43], v1, v[34:37], s[20:21] offset:24 th:TH_ATOMIC_RETURN scope:SCOPE_SYS
	s_wait_loadcnt 0x0
	global_inv scope:SCOPE_SYS
	s_wait_xcnt 0x0
	v_cmpx_ne_u64_e64 v[42:43], v[36:37]
	s_cbranch_execz .LBB2_1054
; %bb.1051:                             ;   in Loop: Header=BB2_1000 Depth=2
	s_mov_b32 s41, 0
.LBB2_1052:                             ;   Parent Loop BB2_431 Depth=1
                                        ;     Parent Loop BB2_1000 Depth=2
                                        ; =>    This Inner Loop Header: Depth=3
	s_sleep 1
	s_clause 0x1
	global_load_b64 v[34:35], v1, s[20:21] offset:40
	global_load_b64 v[44:45], v1, s[20:21]
	v_mov_b64_e32 v[36:37], v[42:43]
	s_wait_loadcnt 0x1
	s_delay_alu instid0(VALU_DEP_1) | instskip(SKIP_1) | instid1(VALU_DEP_1)
	v_and_b32_e32 v0, v34, v36
	s_wait_loadcnt 0x0
	v_mad_nc_u64_u32 v[42:43], v0, 24, v[44:45]
	s_delay_alu instid0(VALU_DEP_3) | instskip(NEXT) | instid1(VALU_DEP_1)
	v_and_b32_e32 v0, v35, v37
	v_mad_u32 v43, v0, 24, v43
	global_load_b64 v[34:35], v[42:43], off scope:SCOPE_SYS
	s_wait_xcnt 0x0
	s_wait_loadcnt 0x0
	global_atomic_cmpswap_b64 v[42:43], v1, v[34:37], s[20:21] offset:24 th:TH_ATOMIC_RETURN scope:SCOPE_SYS
	s_wait_loadcnt 0x0
	global_inv scope:SCOPE_SYS
	v_cmp_eq_u64_e32 vcc_lo, v[42:43], v[36:37]
	s_or_b32 s41, vcc_lo, s41
	s_wait_xcnt 0x0
	s_and_not1_b32 exec_lo, exec_lo, s41
	s_cbranch_execnz .LBB2_1052
; %bb.1053:                             ;   in Loop: Header=BB2_1000 Depth=2
	s_or_b32 exec_lo, exec_lo, s41
.LBB2_1054:                             ;   in Loop: Header=BB2_1000 Depth=2
	s_delay_alu instid0(SALU_CYCLE_1)
	s_or_b32 exec_lo, exec_lo, s40
.LBB2_1055:                             ;   in Loop: Header=BB2_1000 Depth=2
	s_delay_alu instid0(SALU_CYCLE_1)
	s_or_b32 exec_lo, exec_lo, s3
	s_clause 0x1
	global_load_b64 v[44:45], v1, s[20:21] offset:40
	global_load_b128 v[34:37], v1, s[20:21]
	v_readfirstlane_b32 s40, v42
	v_readfirstlane_b32 s41, v43
	s_mov_b32 s3, exec_lo
	s_wait_loadcnt 0x1
	v_and_b32_e32 v44, s40, v44
	v_and_b32_e32 v45, s41, v45
	s_delay_alu instid0(VALU_DEP_1) | instskip(SKIP_1) | instid1(VALU_DEP_1)
	v_mul_u64_e32 v[42:43], 24, v[44:45]
	s_wait_loadcnt 0x0
	v_add_nc_u64_e32 v[42:43], v[34:35], v[42:43]
	s_wait_xcnt 0x0
	s_and_saveexec_b32 s42, s2
	s_cbranch_execz .LBB2_1057
; %bb.1056:                             ;   in Loop: Header=BB2_1000 Depth=2
	v_mov_b32_e32 v0, s3
	global_store_b128 v[42:43], v[0:3], off offset:8
.LBB2_1057:                             ;   in Loop: Header=BB2_1000 Depth=2
	s_wait_xcnt 0x0
	s_or_b32 exec_lo, exec_lo, s42
	v_cmp_lt_u64_e64 vcc_lo, s[36:37], 57
	v_lshlrev_b64_e32 v[44:45], 12, v[44:45]
	v_and_b32_e32 v5, 0xffffff1f, v18
	s_lshl_b32 s3, s38, 2
	s_delay_alu instid0(SALU_CYCLE_1) | instskip(SKIP_1) | instid1(VALU_DEP_3)
	s_add_co_i32 s3, s3, 28
	v_cndmask_b32_e32 v0, 0, v6, vcc_lo
	v_add_nc_u64_e32 v[36:37], v[36:37], v[44:45]
	s_delay_alu instid0(VALU_DEP_2) | instskip(NEXT) | instid1(VALU_DEP_2)
	v_or_b32_e32 v0, v5, v0
	v_readfirstlane_b32 s42, v36
	s_delay_alu instid0(VALU_DEP_3) | instskip(NEXT) | instid1(VALU_DEP_3)
	v_readfirstlane_b32 s43, v37
	v_and_or_b32 v18, 0x1e0, s3, v0
	s_clause 0x3
	global_store_b128 v38, v[18:21], s[42:43]
	global_store_b128 v38, v[22:25], s[42:43] offset:16
	global_store_b128 v38, v[26:29], s[42:43] offset:32
	;; [unrolled: 1-line block ×3, first 2 shown]
	s_wait_xcnt 0x0
	s_and_saveexec_b32 s3, s2
	s_cbranch_execz .LBB2_1065
; %bb.1058:                             ;   in Loop: Header=BB2_1000 Depth=2
	s_clause 0x1
	global_load_b64 v[26:27], v1, s[20:21] offset:32 scope:SCOPE_SYS
	global_load_b64 v[18:19], v1, s[20:21] offset:40
	s_mov_b32 s42, exec_lo
	v_dual_mov_b32 v24, s40 :: v_dual_mov_b32 v25, s41
	s_wait_loadcnt 0x0
	v_and_b32_e32 v19, s41, v19
	v_and_b32_e32 v18, s40, v18
	s_delay_alu instid0(VALU_DEP_1) | instskip(NEXT) | instid1(VALU_DEP_1)
	v_mul_u64_e32 v[18:19], 24, v[18:19]
	v_add_nc_u64_e32 v[22:23], v[34:35], v[18:19]
	global_store_b64 v[22:23], v[26:27], off
	global_wb scope:SCOPE_SYS
	s_wait_storecnt 0x0
	s_wait_xcnt 0x0
	global_atomic_cmpswap_b64 v[20:21], v1, v[24:27], s[20:21] offset:32 th:TH_ATOMIC_RETURN scope:SCOPE_SYS
	s_wait_loadcnt 0x0
	v_cmpx_ne_u64_e64 v[20:21], v[26:27]
	s_cbranch_execz .LBB2_1061
; %bb.1059:                             ;   in Loop: Header=BB2_1000 Depth=2
	s_mov_b32 s43, 0
.LBB2_1060:                             ;   Parent Loop BB2_431 Depth=1
                                        ;     Parent Loop BB2_1000 Depth=2
                                        ; =>    This Inner Loop Header: Depth=3
	v_dual_mov_b32 v18, s40 :: v_dual_mov_b32 v19, s41
	s_sleep 1
	global_store_b64 v[22:23], v[20:21], off
	global_wb scope:SCOPE_SYS
	s_wait_storecnt 0x0
	s_wait_xcnt 0x0
	global_atomic_cmpswap_b64 v[18:19], v1, v[18:21], s[20:21] offset:32 th:TH_ATOMIC_RETURN scope:SCOPE_SYS
	s_wait_loadcnt 0x0
	v_cmp_eq_u64_e32 vcc_lo, v[18:19], v[20:21]
	v_mov_b64_e32 v[20:21], v[18:19]
	s_or_b32 s43, vcc_lo, s43
	s_delay_alu instid0(SALU_CYCLE_1)
	s_and_not1_b32 exec_lo, exec_lo, s43
	s_cbranch_execnz .LBB2_1060
.LBB2_1061:                             ;   in Loop: Header=BB2_1000 Depth=2
	s_or_b32 exec_lo, exec_lo, s42
	global_load_b64 v[18:19], v1, s[20:21] offset:16
	s_mov_b32 s43, exec_lo
	s_mov_b32 s42, exec_lo
	v_mbcnt_lo_u32_b32 v0, s43, 0
	s_wait_xcnt 0x0
	s_delay_alu instid0(VALU_DEP_1)
	v_cmpx_eq_u32_e32 0, v0
	s_cbranch_execz .LBB2_1063
; %bb.1062:                             ;   in Loop: Header=BB2_1000 Depth=2
	s_bcnt1_i32_b32 s43, s43
	s_delay_alu instid0(SALU_CYCLE_1)
	v_mov_b32_e32 v0, s43
	global_wb scope:SCOPE_SYS
	s_wait_loadcnt 0x0
	s_wait_storecnt 0x0
	global_atomic_add_u64 v[18:19], v[0:1], off offset:8 scope:SCOPE_SYS
.LBB2_1063:                             ;   in Loop: Header=BB2_1000 Depth=2
	s_wait_xcnt 0x0
	s_or_b32 exec_lo, exec_lo, s42
	s_wait_loadcnt 0x0
	global_load_b64 v[20:21], v[18:19], off offset:16
	s_wait_loadcnt 0x0
	v_cmp_eq_u64_e32 vcc_lo, 0, v[20:21]
	s_cbranch_vccnz .LBB2_1065
; %bb.1064:                             ;   in Loop: Header=BB2_1000 Depth=2
	global_load_b32 v0, v[18:19], off offset:24
	s_wait_loadcnt 0x0
	v_readfirstlane_b32 s42, v0
	global_wb scope:SCOPE_SYS
	s_wait_storecnt 0x0
	s_wait_xcnt 0x0
	global_store_b64 v[20:21], v[0:1], off scope:SCOPE_SYS
	s_and_b32 m0, s42, 0xffffff
	s_sendmsg sendmsg(MSG_INTERRUPT)
.LBB2_1065:                             ;   in Loop: Header=BB2_1000 Depth=2
	s_wait_xcnt 0x0
	s_or_b32 exec_lo, exec_lo, s3
	v_mov_b32_e32 v39, v1
	s_delay_alu instid0(VALU_DEP_1)
	v_add_nc_u64_e32 v[18:19], v[36:37], v[38:39]
	s_branch .LBB2_1069
.LBB2_1066:                             ;   in Loop: Header=BB2_1069 Depth=3
	s_wait_xcnt 0x0
	s_or_b32 exec_lo, exec_lo, s3
	s_delay_alu instid0(VALU_DEP_1)
	v_readfirstlane_b32 s3, v0
	s_cmp_eq_u32 s3, 0
	s_cbranch_scc1 .LBB2_1068
; %bb.1067:                             ;   in Loop: Header=BB2_1069 Depth=3
	s_sleep 1
	s_cbranch_execnz .LBB2_1069
	s_branch .LBB2_1071
.LBB2_1068:                             ;   in Loop: Header=BB2_1000 Depth=2
	s_branch .LBB2_1071
.LBB2_1069:                             ;   Parent Loop BB2_431 Depth=1
                                        ;     Parent Loop BB2_1000 Depth=2
                                        ; =>    This Inner Loop Header: Depth=3
	v_mov_b32_e32 v0, 1
	s_and_saveexec_b32 s3, s2
	s_cbranch_execz .LBB2_1066
; %bb.1070:                             ;   in Loop: Header=BB2_1069 Depth=3
	global_load_b32 v0, v[42:43], off offset:20 scope:SCOPE_SYS
	s_wait_loadcnt 0x0
	global_inv scope:SCOPE_SYS
	v_and_b32_e32 v0, 1, v0
	s_branch .LBB2_1066
.LBB2_1071:                             ;   in Loop: Header=BB2_1000 Depth=2
	global_load_b64 v[18:19], v[18:19], off
	s_wait_xcnt 0x0
	s_and_saveexec_b32 s42, s2
	s_cbranch_execz .LBB2_999
; %bb.1072:                             ;   in Loop: Header=BB2_1000 Depth=2
	s_clause 0x2
	global_load_b64 v[20:21], v1, s[20:21] offset:40
	global_load_b64 v[28:29], v1, s[20:21] offset:24 scope:SCOPE_SYS
	global_load_b64 v[22:23], v1, s[20:21]
	s_wait_loadcnt 0x2
	v_readfirstlane_b32 s48, v20
	v_readfirstlane_b32 s49, v21
	s_add_nc_u64 s[2:3], s[48:49], 1
	s_delay_alu instid0(SALU_CYCLE_1) | instskip(NEXT) | instid1(SALU_CYCLE_1)
	s_add_nc_u64 s[40:41], s[2:3], s[40:41]
	s_cmp_eq_u64 s[40:41], 0
	s_cselect_b32 s3, s3, s41
	s_cselect_b32 s2, s2, s40
	s_delay_alu instid0(SALU_CYCLE_1) | instskip(SKIP_1) | instid1(SALU_CYCLE_1)
	v_dual_mov_b32 v27, s3 :: v_dual_mov_b32 v26, s2
	s_and_b64 s[40:41], s[2:3], s[48:49]
	s_mul_u64 s[40:41], s[40:41], 24
	s_wait_loadcnt 0x0
	v_add_nc_u64_e32 v[24:25], s[40:41], v[22:23]
	global_store_b64 v[24:25], v[28:29], off
	global_wb scope:SCOPE_SYS
	s_wait_storecnt 0x0
	s_wait_xcnt 0x0
	global_atomic_cmpswap_b64 v[22:23], v1, v[26:29], s[20:21] offset:24 th:TH_ATOMIC_RETURN scope:SCOPE_SYS
	s_wait_loadcnt 0x0
	v_cmp_ne_u64_e32 vcc_lo, v[22:23], v[28:29]
	s_and_b32 exec_lo, exec_lo, vcc_lo
	s_cbranch_execz .LBB2_999
; %bb.1073:                             ;   in Loop: Header=BB2_1000 Depth=2
	s_mov_b32 s40, 0
.LBB2_1074:                             ;   Parent Loop BB2_431 Depth=1
                                        ;     Parent Loop BB2_1000 Depth=2
                                        ; =>    This Inner Loop Header: Depth=3
	v_dual_mov_b32 v20, s2 :: v_dual_mov_b32 v21, s3
	s_sleep 1
	global_store_b64 v[24:25], v[22:23], off
	global_wb scope:SCOPE_SYS
	s_wait_storecnt 0x0
	s_wait_xcnt 0x0
	global_atomic_cmpswap_b64 v[20:21], v1, v[20:23], s[20:21] offset:24 th:TH_ATOMIC_RETURN scope:SCOPE_SYS
	s_wait_loadcnt 0x0
	v_cmp_eq_u64_e32 vcc_lo, v[20:21], v[22:23]
	v_mov_b64_e32 v[22:23], v[20:21]
	s_or_b32 s40, vcc_lo, s40
	s_delay_alu instid0(SALU_CYCLE_1)
	s_and_not1_b32 exec_lo, exec_lo, s40
	s_cbranch_execnz .LBB2_1074
	s_branch .LBB2_999
.LBB2_1075:                             ;   in Loop: Header=BB2_431 Depth=1
	s_branch .LBB2_1104
.LBB2_1076:                             ;   in Loop: Header=BB2_431 Depth=1
                                        ; implicit-def: $vgpr18_vgpr19
	s_cbranch_execz .LBB2_1104
; %bb.1077:                             ;   in Loop: Header=BB2_431 Depth=1
	v_readfirstlane_b32 s2, v46
	v_mov_b64_e32 v[6:7], 0
	s_delay_alu instid0(VALU_DEP_2)
	v_cmp_eq_u32_e64 s2, s2, v46
	s_and_saveexec_b32 s3, s2
	s_cbranch_execz .LBB2_1083
; %bb.1078:                             ;   in Loop: Header=BB2_431 Depth=1
	s_wait_loadcnt 0x0
	global_load_b64 v[20:21], v1, s[20:21] offset:24 scope:SCOPE_SYS
	s_wait_loadcnt 0x0
	global_inv scope:SCOPE_SYS
	s_clause 0x1
	global_load_b64 v[6:7], v1, s[20:21] offset:40
	global_load_b64 v[18:19], v1, s[20:21]
	s_mov_b32 s34, exec_lo
	s_wait_loadcnt 0x1
	v_and_b32_e32 v6, v6, v20
	v_and_b32_e32 v7, v7, v21
	s_delay_alu instid0(VALU_DEP_1) | instskip(SKIP_1) | instid1(VALU_DEP_1)
	v_mul_u64_e32 v[6:7], 24, v[6:7]
	s_wait_loadcnt 0x0
	v_add_nc_u64_e32 v[6:7], v[18:19], v[6:7]
	global_load_b64 v[18:19], v[6:7], off scope:SCOPE_SYS
	s_wait_xcnt 0x0
	s_wait_loadcnt 0x0
	global_atomic_cmpswap_b64 v[6:7], v1, v[18:21], s[20:21] offset:24 th:TH_ATOMIC_RETURN scope:SCOPE_SYS
	s_wait_loadcnt 0x0
	global_inv scope:SCOPE_SYS
	s_wait_xcnt 0x0
	v_cmpx_ne_u64_e64 v[6:7], v[20:21]
	s_cbranch_execz .LBB2_1082
; %bb.1079:                             ;   in Loop: Header=BB2_431 Depth=1
	s_mov_b32 s35, 0
.LBB2_1080:                             ;   Parent Loop BB2_431 Depth=1
                                        ; =>  This Inner Loop Header: Depth=2
	s_sleep 1
	s_clause 0x1
	global_load_b64 v[18:19], v1, s[20:21] offset:40
	global_load_b64 v[22:23], v1, s[20:21]
	v_mov_b64_e32 v[20:21], v[6:7]
	s_wait_loadcnt 0x1
	s_delay_alu instid0(VALU_DEP_1) | instskip(SKIP_1) | instid1(VALU_DEP_1)
	v_and_b32_e32 v0, v18, v20
	s_wait_loadcnt 0x0
	v_mad_nc_u64_u32 v[6:7], v0, 24, v[22:23]
	s_delay_alu instid0(VALU_DEP_3) | instskip(NEXT) | instid1(VALU_DEP_1)
	v_and_b32_e32 v0, v19, v21
	v_mad_u32 v7, v0, 24, v7
	global_load_b64 v[18:19], v[6:7], off scope:SCOPE_SYS
	s_wait_xcnt 0x0
	s_wait_loadcnt 0x0
	global_atomic_cmpswap_b64 v[6:7], v1, v[18:21], s[20:21] offset:24 th:TH_ATOMIC_RETURN scope:SCOPE_SYS
	s_wait_loadcnt 0x0
	global_inv scope:SCOPE_SYS
	v_cmp_eq_u64_e32 vcc_lo, v[6:7], v[20:21]
	s_or_b32 s35, vcc_lo, s35
	s_wait_xcnt 0x0
	s_and_not1_b32 exec_lo, exec_lo, s35
	s_cbranch_execnz .LBB2_1080
; %bb.1081:                             ;   in Loop: Header=BB2_431 Depth=1
	s_or_b32 exec_lo, exec_lo, s35
.LBB2_1082:                             ;   in Loop: Header=BB2_431 Depth=1
	s_delay_alu instid0(SALU_CYCLE_1)
	s_or_b32 exec_lo, exec_lo, s34
.LBB2_1083:                             ;   in Loop: Header=BB2_431 Depth=1
	s_delay_alu instid0(SALU_CYCLE_1)
	s_or_b32 exec_lo, exec_lo, s3
	s_wait_loadcnt 0x0
	s_clause 0x1
	global_load_b64 v[18:19], v1, s[20:21] offset:40
	global_load_b128 v[20:23], v1, s[20:21]
	v_readfirstlane_b32 s34, v6
	v_readfirstlane_b32 s35, v7
	s_mov_b32 s3, exec_lo
	s_wait_loadcnt 0x1
	v_and_b32_e32 v18, s34, v18
	v_and_b32_e32 v19, s35, v19
	s_delay_alu instid0(VALU_DEP_1) | instskip(SKIP_1) | instid1(VALU_DEP_1)
	v_mul_u64_e32 v[6:7], 24, v[18:19]
	s_wait_loadcnt 0x0
	v_add_nc_u64_e32 v[6:7], v[20:21], v[6:7]
	s_wait_xcnt 0x0
	s_and_saveexec_b32 s36, s2
	s_cbranch_execz .LBB2_1085
; %bb.1084:                             ;   in Loop: Header=BB2_431 Depth=1
	v_mov_b32_e32 v0, s3
	global_store_b128 v[6:7], v[0:3], off offset:8
.LBB2_1085:                             ;   in Loop: Header=BB2_431 Depth=1
	s_wait_xcnt 0x0
	s_or_b32 exec_lo, exec_lo, s36
	v_lshlrev_b64_e32 v[18:19], 12, v[18:19]
	v_mov_b64_e32 v[26:27], s[10:11]
	v_mov_b64_e32 v[24:25], s[8:9]
	v_and_or_b32 v16, 0xffffff1f, v16, 32
	s_delay_alu instid0(VALU_DEP_4) | instskip(SKIP_1) | instid1(VALU_DEP_2)
	v_add_nc_u64_e32 v[22:23], v[22:23], v[18:19]
	v_dual_mov_b32 v18, v1 :: v_dual_mov_b32 v19, v1
	v_readfirstlane_b32 s36, v22
	s_delay_alu instid0(VALU_DEP_3)
	v_readfirstlane_b32 s37, v23
	s_clause 0x3
	global_store_b128 v38, v[16:19], s[36:37]
	global_store_b128 v38, v[24:27], s[36:37] offset:16
	global_store_b128 v38, v[24:27], s[36:37] offset:32
	;; [unrolled: 1-line block ×3, first 2 shown]
	s_wait_xcnt 0x0
	s_and_saveexec_b32 s3, s2
	s_cbranch_execz .LBB2_1093
; %bb.1086:                             ;   in Loop: Header=BB2_431 Depth=1
	s_clause 0x1
	global_load_b64 v[26:27], v1, s[20:21] offset:32 scope:SCOPE_SYS
	global_load_b64 v[16:17], v1, s[20:21] offset:40
	s_mov_b32 s36, exec_lo
	v_dual_mov_b32 v24, s34 :: v_dual_mov_b32 v25, s35
	s_wait_loadcnt 0x0
	v_and_b32_e32 v17, s35, v17
	v_and_b32_e32 v16, s34, v16
	s_delay_alu instid0(VALU_DEP_1) | instskip(NEXT) | instid1(VALU_DEP_1)
	v_mul_u64_e32 v[16:17], 24, v[16:17]
	v_add_nc_u64_e32 v[20:21], v[20:21], v[16:17]
	global_store_b64 v[20:21], v[26:27], off
	global_wb scope:SCOPE_SYS
	s_wait_storecnt 0x0
	s_wait_xcnt 0x0
	global_atomic_cmpswap_b64 v[18:19], v1, v[24:27], s[20:21] offset:32 th:TH_ATOMIC_RETURN scope:SCOPE_SYS
	s_wait_loadcnt 0x0
	v_cmpx_ne_u64_e64 v[18:19], v[26:27]
	s_cbranch_execz .LBB2_1089
; %bb.1087:                             ;   in Loop: Header=BB2_431 Depth=1
	s_mov_b32 s37, 0
.LBB2_1088:                             ;   Parent Loop BB2_431 Depth=1
                                        ; =>  This Inner Loop Header: Depth=2
	v_dual_mov_b32 v16, s34 :: v_dual_mov_b32 v17, s35
	s_sleep 1
	global_store_b64 v[20:21], v[18:19], off
	global_wb scope:SCOPE_SYS
	s_wait_storecnt 0x0
	s_wait_xcnt 0x0
	global_atomic_cmpswap_b64 v[16:17], v1, v[16:19], s[20:21] offset:32 th:TH_ATOMIC_RETURN scope:SCOPE_SYS
	s_wait_loadcnt 0x0
	v_cmp_eq_u64_e32 vcc_lo, v[16:17], v[18:19]
	v_mov_b64_e32 v[18:19], v[16:17]
	s_or_b32 s37, vcc_lo, s37
	s_delay_alu instid0(SALU_CYCLE_1)
	s_and_not1_b32 exec_lo, exec_lo, s37
	s_cbranch_execnz .LBB2_1088
.LBB2_1089:                             ;   in Loop: Header=BB2_431 Depth=1
	s_or_b32 exec_lo, exec_lo, s36
	global_load_b64 v[16:17], v1, s[20:21] offset:16
	s_mov_b32 s37, exec_lo
	s_mov_b32 s36, exec_lo
	v_mbcnt_lo_u32_b32 v0, s37, 0
	s_wait_xcnt 0x0
	s_delay_alu instid0(VALU_DEP_1)
	v_cmpx_eq_u32_e32 0, v0
	s_cbranch_execz .LBB2_1091
; %bb.1090:                             ;   in Loop: Header=BB2_431 Depth=1
	s_bcnt1_i32_b32 s37, s37
	s_delay_alu instid0(SALU_CYCLE_1)
	v_mov_b32_e32 v0, s37
	global_wb scope:SCOPE_SYS
	s_wait_loadcnt 0x0
	s_wait_storecnt 0x0
	global_atomic_add_u64 v[16:17], v[0:1], off offset:8 scope:SCOPE_SYS
.LBB2_1091:                             ;   in Loop: Header=BB2_431 Depth=1
	s_wait_xcnt 0x0
	s_or_b32 exec_lo, exec_lo, s36
	s_wait_loadcnt 0x0
	global_load_b64 v[18:19], v[16:17], off offset:16
	s_wait_loadcnt 0x0
	v_cmp_eq_u64_e32 vcc_lo, 0, v[18:19]
	s_cbranch_vccnz .LBB2_1093
; %bb.1092:                             ;   in Loop: Header=BB2_431 Depth=1
	global_load_b32 v0, v[16:17], off offset:24
	s_wait_loadcnt 0x0
	v_readfirstlane_b32 s36, v0
	global_wb scope:SCOPE_SYS
	s_wait_storecnt 0x0
	s_wait_xcnt 0x0
	global_store_b64 v[18:19], v[0:1], off scope:SCOPE_SYS
	s_and_b32 m0, s36, 0xffffff
	s_sendmsg sendmsg(MSG_INTERRUPT)
.LBB2_1093:                             ;   in Loop: Header=BB2_431 Depth=1
	s_wait_xcnt 0x0
	s_or_b32 exec_lo, exec_lo, s3
	v_mov_b32_e32 v39, v1
	s_delay_alu instid0(VALU_DEP_1)
	v_add_nc_u64_e32 v[16:17], v[22:23], v[38:39]
	s_branch .LBB2_1097
.LBB2_1094:                             ;   in Loop: Header=BB2_1097 Depth=2
	s_wait_xcnt 0x0
	s_or_b32 exec_lo, exec_lo, s3
	s_delay_alu instid0(VALU_DEP_1)
	v_readfirstlane_b32 s3, v0
	s_cmp_eq_u32 s3, 0
	s_cbranch_scc1 .LBB2_1096
; %bb.1095:                             ;   in Loop: Header=BB2_1097 Depth=2
	s_sleep 1
	s_cbranch_execnz .LBB2_1097
	s_branch .LBB2_1099
.LBB2_1096:                             ;   in Loop: Header=BB2_431 Depth=1
	s_branch .LBB2_1099
.LBB2_1097:                             ;   Parent Loop BB2_431 Depth=1
                                        ; =>  This Inner Loop Header: Depth=2
	v_mov_b32_e32 v0, 1
	s_and_saveexec_b32 s3, s2
	s_cbranch_execz .LBB2_1094
; %bb.1098:                             ;   in Loop: Header=BB2_1097 Depth=2
	global_load_b32 v0, v[6:7], off offset:20 scope:SCOPE_SYS
	s_wait_loadcnt 0x0
	global_inv scope:SCOPE_SYS
	v_and_b32_e32 v0, 1, v0
	s_branch .LBB2_1094
.LBB2_1099:                             ;   in Loop: Header=BB2_431 Depth=1
	global_load_b64 v[18:19], v[16:17], off
	s_wait_xcnt 0x0
	s_and_saveexec_b32 s36, s2
	s_cbranch_execz .LBB2_1103
; %bb.1100:                             ;   in Loop: Header=BB2_431 Depth=1
	s_clause 0x2
	global_load_b64 v[6:7], v1, s[20:21] offset:40
	global_load_b64 v[24:25], v1, s[20:21] offset:24 scope:SCOPE_SYS
	global_load_b64 v[16:17], v1, s[20:21]
	s_wait_loadcnt 0x2
	v_readfirstlane_b32 s38, v6
	v_readfirstlane_b32 s39, v7
	s_add_nc_u64 s[2:3], s[38:39], 1
	s_delay_alu instid0(SALU_CYCLE_1) | instskip(NEXT) | instid1(SALU_CYCLE_1)
	s_add_nc_u64 s[34:35], s[2:3], s[34:35]
	s_cmp_eq_u64 s[34:35], 0
	s_cselect_b32 s3, s3, s35
	s_cselect_b32 s2, s2, s34
	s_delay_alu instid0(SALU_CYCLE_1) | instskip(SKIP_1) | instid1(SALU_CYCLE_1)
	v_dual_mov_b32 v23, s3 :: v_dual_mov_b32 v22, s2
	s_and_b64 s[34:35], s[2:3], s[38:39]
	s_mul_u64 s[34:35], s[34:35], 24
	s_wait_loadcnt 0x0
	v_add_nc_u64_e32 v[6:7], s[34:35], v[16:17]
	global_store_b64 v[6:7], v[24:25], off
	global_wb scope:SCOPE_SYS
	s_wait_storecnt 0x0
	s_wait_xcnt 0x0
	global_atomic_cmpswap_b64 v[22:23], v1, v[22:25], s[20:21] offset:24 th:TH_ATOMIC_RETURN scope:SCOPE_SYS
	s_wait_loadcnt 0x0
	v_cmp_ne_u64_e32 vcc_lo, v[22:23], v[24:25]
	s_and_b32 exec_lo, exec_lo, vcc_lo
	s_cbranch_execz .LBB2_1103
; %bb.1101:                             ;   in Loop: Header=BB2_431 Depth=1
	s_mov_b32 s34, 0
.LBB2_1102:                             ;   Parent Loop BB2_431 Depth=1
                                        ; =>  This Inner Loop Header: Depth=2
	v_dual_mov_b32 v20, s2 :: v_dual_mov_b32 v21, s3
	s_sleep 1
	global_store_b64 v[6:7], v[22:23], off
	global_wb scope:SCOPE_SYS
	s_wait_storecnt 0x0
	s_wait_xcnt 0x0
	global_atomic_cmpswap_b64 v[16:17], v1, v[20:23], s[20:21] offset:24 th:TH_ATOMIC_RETURN scope:SCOPE_SYS
	s_wait_loadcnt 0x0
	v_cmp_eq_u64_e32 vcc_lo, v[16:17], v[22:23]
	v_mov_b64_e32 v[22:23], v[16:17]
	s_or_b32 s34, vcc_lo, s34
	s_delay_alu instid0(SALU_CYCLE_1)
	s_and_not1_b32 exec_lo, exec_lo, s34
	s_cbranch_execnz .LBB2_1102
.LBB2_1103:                             ;   in Loop: Header=BB2_431 Depth=1
	s_or_b32 exec_lo, exec_lo, s36
.LBB2_1104:                             ;   in Loop: Header=BB2_431 Depth=1
	v_readfirstlane_b32 s2, v46
	v_mov_b64_e32 v[6:7], 0
	s_delay_alu instid0(VALU_DEP_2)
	v_cmp_eq_u32_e64 s2, s2, v46
	s_and_saveexec_b32 s3, s2
	s_cbranch_execz .LBB2_1110
; %bb.1105:                             ;   in Loop: Header=BB2_431 Depth=1
	global_load_b64 v[22:23], v1, s[20:21] offset:24 scope:SCOPE_SYS
	s_wait_loadcnt 0x0
	global_inv scope:SCOPE_SYS
	s_clause 0x1
	global_load_b64 v[6:7], v1, s[20:21] offset:40
	global_load_b64 v[16:17], v1, s[20:21]
	s_mov_b32 s34, exec_lo
	s_wait_loadcnt 0x1
	v_and_b32_e32 v6, v6, v22
	v_and_b32_e32 v7, v7, v23
	s_delay_alu instid0(VALU_DEP_1) | instskip(SKIP_1) | instid1(VALU_DEP_1)
	v_mul_u64_e32 v[6:7], 24, v[6:7]
	s_wait_loadcnt 0x0
	v_add_nc_u64_e32 v[6:7], v[16:17], v[6:7]
	global_load_b64 v[20:21], v[6:7], off scope:SCOPE_SYS
	s_wait_xcnt 0x0
	s_wait_loadcnt 0x0
	global_atomic_cmpswap_b64 v[6:7], v1, v[20:23], s[20:21] offset:24 th:TH_ATOMIC_RETURN scope:SCOPE_SYS
	s_wait_loadcnt 0x0
	global_inv scope:SCOPE_SYS
	s_wait_xcnt 0x0
	v_cmpx_ne_u64_e64 v[6:7], v[22:23]
	s_cbranch_execz .LBB2_1109
; %bb.1106:                             ;   in Loop: Header=BB2_431 Depth=1
	s_mov_b32 s35, 0
.LBB2_1107:                             ;   Parent Loop BB2_431 Depth=1
                                        ; =>  This Inner Loop Header: Depth=2
	s_sleep 1
	s_clause 0x1
	global_load_b64 v[16:17], v1, s[20:21] offset:40
	global_load_b64 v[20:21], v1, s[20:21]
	v_mov_b64_e32 v[22:23], v[6:7]
	s_wait_loadcnt 0x1
	s_delay_alu instid0(VALU_DEP_1) | instskip(SKIP_1) | instid1(VALU_DEP_1)
	v_and_b32_e32 v0, v16, v22
	s_wait_loadcnt 0x0
	v_mad_nc_u64_u32 v[6:7], v0, 24, v[20:21]
	s_delay_alu instid0(VALU_DEP_3) | instskip(NEXT) | instid1(VALU_DEP_1)
	v_and_b32_e32 v0, v17, v23
	v_mad_u32 v7, v0, 24, v7
	global_load_b64 v[20:21], v[6:7], off scope:SCOPE_SYS
	s_wait_xcnt 0x0
	s_wait_loadcnt 0x0
	global_atomic_cmpswap_b64 v[6:7], v1, v[20:23], s[20:21] offset:24 th:TH_ATOMIC_RETURN scope:SCOPE_SYS
	s_wait_loadcnt 0x0
	global_inv scope:SCOPE_SYS
	v_cmp_eq_u64_e32 vcc_lo, v[6:7], v[22:23]
	s_or_b32 s35, vcc_lo, s35
	s_wait_xcnt 0x0
	s_and_not1_b32 exec_lo, exec_lo, s35
	s_cbranch_execnz .LBB2_1107
; %bb.1108:                             ;   in Loop: Header=BB2_431 Depth=1
	s_or_b32 exec_lo, exec_lo, s35
.LBB2_1109:                             ;   in Loop: Header=BB2_431 Depth=1
	s_delay_alu instid0(SALU_CYCLE_1)
	s_or_b32 exec_lo, exec_lo, s34
.LBB2_1110:                             ;   in Loop: Header=BB2_431 Depth=1
	s_delay_alu instid0(SALU_CYCLE_1)
	s_or_b32 exec_lo, exec_lo, s3
	s_wait_loadcnt 0x0
	s_clause 0x1
	global_load_b64 v[16:17], v1, s[20:21] offset:40
	global_load_b128 v[22:25], v1, s[20:21]
	v_readfirstlane_b32 s34, v6
	v_readfirstlane_b32 s35, v7
	s_mov_b32 s3, exec_lo
	s_wait_loadcnt 0x1
	v_and_b32_e32 v16, s34, v16
	v_and_b32_e32 v17, s35, v17
	s_delay_alu instid0(VALU_DEP_1) | instskip(SKIP_1) | instid1(VALU_DEP_1)
	v_mul_u64_e32 v[6:7], 24, v[16:17]
	s_wait_loadcnt 0x0
	v_add_nc_u64_e32 v[6:7], v[22:23], v[6:7]
	s_wait_xcnt 0x0
	s_and_saveexec_b32 s36, s2
	s_cbranch_execz .LBB2_1112
; %bb.1111:                             ;   in Loop: Header=BB2_431 Depth=1
	v_mov_b32_e32 v0, s3
	global_store_b128 v[6:7], v[0:3], off offset:8
.LBB2_1112:                             ;   in Loop: Header=BB2_431 Depth=1
	s_wait_xcnt 0x0
	s_or_b32 exec_lo, exec_lo, s36
	v_lshlrev_b64_e32 v[16:17], 12, v[16:17]
	s_ashr_i32 s3, s46, 1
	v_and_or_b32 v18, 0xffffff1d, v18, 34
	v_dual_mov_b32 v21, v1 :: v_dual_mov_b32 v20, s3
	s_delay_alu instid0(VALU_DEP_3) | instskip(SKIP_2) | instid1(VALU_DEP_3)
	v_add_nc_u64_e32 v[16:17], v[24:25], v[16:17]
	v_mov_b64_e32 v[26:27], s[10:11]
	v_mov_b64_e32 v[24:25], s[8:9]
	v_readfirstlane_b32 s36, v16
	s_delay_alu instid0(VALU_DEP_4)
	v_readfirstlane_b32 s37, v17
	s_clause 0x3
	global_store_b128 v38, v[18:21], s[36:37]
	global_store_b128 v38, v[24:27], s[36:37] offset:16
	global_store_b128 v38, v[24:27], s[36:37] offset:32
	global_store_b128 v38, v[24:27], s[36:37] offset:48
	s_wait_xcnt 0x0
	s_and_saveexec_b32 s3, s2
	s_cbranch_execz .LBB2_1120
; %bb.1113:                             ;   in Loop: Header=BB2_431 Depth=1
	s_clause 0x1
	global_load_b64 v[24:25], v1, s[20:21] offset:32 scope:SCOPE_SYS
	global_load_b64 v[16:17], v1, s[20:21] offset:40
	s_mov_b32 s36, exec_lo
	s_wait_loadcnt 0x0
	v_and_b32_e32 v16, s34, v16
	v_and_b32_e32 v17, s35, v17
	s_delay_alu instid0(VALU_DEP_1) | instskip(NEXT) | instid1(VALU_DEP_1)
	v_mul_u64_e32 v[16:17], 24, v[16:17]
	v_add_nc_u64_e32 v[20:21], v[22:23], v[16:17]
	v_dual_mov_b32 v22, s34 :: v_dual_mov_b32 v23, s35
	global_store_b64 v[20:21], v[24:25], off
	global_wb scope:SCOPE_SYS
	s_wait_storecnt 0x0
	s_wait_xcnt 0x0
	global_atomic_cmpswap_b64 v[18:19], v1, v[22:25], s[20:21] offset:32 th:TH_ATOMIC_RETURN scope:SCOPE_SYS
	s_wait_loadcnt 0x0
	v_cmpx_ne_u64_e64 v[18:19], v[24:25]
	s_cbranch_execz .LBB2_1116
; %bb.1114:                             ;   in Loop: Header=BB2_431 Depth=1
	s_mov_b32 s37, 0
.LBB2_1115:                             ;   Parent Loop BB2_431 Depth=1
                                        ; =>  This Inner Loop Header: Depth=2
	v_dual_mov_b32 v16, s34 :: v_dual_mov_b32 v17, s35
	s_sleep 1
	global_store_b64 v[20:21], v[18:19], off
	global_wb scope:SCOPE_SYS
	s_wait_storecnt 0x0
	s_wait_xcnt 0x0
	global_atomic_cmpswap_b64 v[16:17], v1, v[16:19], s[20:21] offset:32 th:TH_ATOMIC_RETURN scope:SCOPE_SYS
	s_wait_loadcnt 0x0
	v_cmp_eq_u64_e32 vcc_lo, v[16:17], v[18:19]
	v_mov_b64_e32 v[18:19], v[16:17]
	s_or_b32 s37, vcc_lo, s37
	s_delay_alu instid0(SALU_CYCLE_1)
	s_and_not1_b32 exec_lo, exec_lo, s37
	s_cbranch_execnz .LBB2_1115
.LBB2_1116:                             ;   in Loop: Header=BB2_431 Depth=1
	s_or_b32 exec_lo, exec_lo, s36
	global_load_b64 v[16:17], v1, s[20:21] offset:16
	s_mov_b32 s37, exec_lo
	s_mov_b32 s36, exec_lo
	v_mbcnt_lo_u32_b32 v0, s37, 0
	s_wait_xcnt 0x0
	s_delay_alu instid0(VALU_DEP_1)
	v_cmpx_eq_u32_e32 0, v0
	s_cbranch_execz .LBB2_1118
; %bb.1117:                             ;   in Loop: Header=BB2_431 Depth=1
	s_bcnt1_i32_b32 s37, s37
	s_delay_alu instid0(SALU_CYCLE_1)
	v_mov_b32_e32 v0, s37
	global_wb scope:SCOPE_SYS
	s_wait_loadcnt 0x0
	s_wait_storecnt 0x0
	global_atomic_add_u64 v[16:17], v[0:1], off offset:8 scope:SCOPE_SYS
.LBB2_1118:                             ;   in Loop: Header=BB2_431 Depth=1
	s_wait_xcnt 0x0
	s_or_b32 exec_lo, exec_lo, s36
	s_wait_loadcnt 0x0
	global_load_b64 v[18:19], v[16:17], off offset:16
	s_wait_loadcnt 0x0
	v_cmp_eq_u64_e32 vcc_lo, 0, v[18:19]
	s_cbranch_vccnz .LBB2_1120
; %bb.1119:                             ;   in Loop: Header=BB2_431 Depth=1
	global_load_b32 v0, v[16:17], off offset:24
	s_wait_loadcnt 0x0
	v_readfirstlane_b32 s36, v0
	global_wb scope:SCOPE_SYS
	s_wait_storecnt 0x0
	s_wait_xcnt 0x0
	global_store_b64 v[18:19], v[0:1], off scope:SCOPE_SYS
	s_and_b32 m0, s36, 0xffffff
	s_sendmsg sendmsg(MSG_INTERRUPT)
.LBB2_1120:                             ;   in Loop: Header=BB2_431 Depth=1
	s_wait_xcnt 0x0
	s_or_b32 exec_lo, exec_lo, s3
	s_branch .LBB2_1124
.LBB2_1121:                             ;   in Loop: Header=BB2_1124 Depth=2
	s_wait_xcnt 0x0
	s_or_b32 exec_lo, exec_lo, s3
	s_delay_alu instid0(VALU_DEP_1)
	v_readfirstlane_b32 s3, v0
	s_cmp_eq_u32 s3, 0
	s_cbranch_scc1 .LBB2_1123
; %bb.1122:                             ;   in Loop: Header=BB2_1124 Depth=2
	s_sleep 1
	s_cbranch_execnz .LBB2_1124
	s_branch .LBB2_1126
.LBB2_1123:                             ;   in Loop: Header=BB2_431 Depth=1
	s_branch .LBB2_1126
.LBB2_1124:                             ;   Parent Loop BB2_431 Depth=1
                                        ; =>  This Inner Loop Header: Depth=2
	v_mov_b32_e32 v0, 1
	s_and_saveexec_b32 s3, s2
	s_cbranch_execz .LBB2_1121
; %bb.1125:                             ;   in Loop: Header=BB2_1124 Depth=2
	global_load_b32 v0, v[6:7], off offset:20 scope:SCOPE_SYS
	s_wait_loadcnt 0x0
	global_inv scope:SCOPE_SYS
	v_and_b32_e32 v0, 1, v0
	s_branch .LBB2_1121
.LBB2_1126:                             ;   in Loop: Header=BB2_431 Depth=1
	s_and_saveexec_b32 s36, s2
	s_cbranch_execz .LBB2_430
; %bb.1127:                             ;   in Loop: Header=BB2_431 Depth=1
	s_clause 0x2
	global_load_b64 v[6:7], v1, s[20:21] offset:40
	global_load_b64 v[20:21], v1, s[20:21] offset:24 scope:SCOPE_SYS
	global_load_b64 v[16:17], v1, s[20:21]
	s_wait_loadcnt 0x2
	v_readfirstlane_b32 s38, v6
	v_readfirstlane_b32 s39, v7
	s_add_nc_u64 s[2:3], s[38:39], 1
	s_delay_alu instid0(SALU_CYCLE_1) | instskip(NEXT) | instid1(SALU_CYCLE_1)
	s_add_nc_u64 s[34:35], s[2:3], s[34:35]
	s_cmp_eq_u64 s[34:35], 0
	s_cselect_b32 s3, s3, s35
	s_cselect_b32 s2, s2, s34
	s_delay_alu instid0(SALU_CYCLE_1) | instskip(SKIP_1) | instid1(SALU_CYCLE_1)
	v_dual_mov_b32 v19, s3 :: v_dual_mov_b32 v18, s2
	s_and_b64 s[34:35], s[2:3], s[38:39]
	s_mul_u64 s[34:35], s[34:35], 24
	s_wait_loadcnt 0x0
	v_add_nc_u64_e32 v[6:7], s[34:35], v[16:17]
	global_store_b64 v[6:7], v[20:21], off
	global_wb scope:SCOPE_SYS
	s_wait_storecnt 0x0
	s_wait_xcnt 0x0
	global_atomic_cmpswap_b64 v[18:19], v1, v[18:21], s[20:21] offset:24 th:TH_ATOMIC_RETURN scope:SCOPE_SYS
	s_wait_loadcnt 0x0
	v_cmp_ne_u64_e32 vcc_lo, v[18:19], v[20:21]
	s_and_b32 exec_lo, exec_lo, vcc_lo
	s_cbranch_execz .LBB2_430
; %bb.1128:                             ;   in Loop: Header=BB2_431 Depth=1
	s_mov_b32 s34, 0
.LBB2_1129:                             ;   Parent Loop BB2_431 Depth=1
                                        ; =>  This Inner Loop Header: Depth=2
	v_dual_mov_b32 v16, s2 :: v_dual_mov_b32 v17, s3
	s_sleep 1
	global_store_b64 v[6:7], v[18:19], off
	global_wb scope:SCOPE_SYS
	s_wait_storecnt 0x0
	s_wait_xcnt 0x0
	global_atomic_cmpswap_b64 v[16:17], v1, v[16:19], s[20:21] offset:24 th:TH_ATOMIC_RETURN scope:SCOPE_SYS
	s_wait_loadcnt 0x0
	v_cmp_eq_u64_e32 vcc_lo, v[16:17], v[18:19]
	v_mov_b64_e32 v[18:19], v[16:17]
	s_or_b32 s34, vcc_lo, s34
	s_delay_alu instid0(SALU_CYCLE_1)
	s_and_not1_b32 exec_lo, exec_lo, s34
	s_cbranch_execnz .LBB2_1129
	s_branch .LBB2_430
.LBB2_1130:
	v_readfirstlane_b32 s2, v46
	v_mov_b64_e32 v[4:5], 0
	s_delay_alu instid0(VALU_DEP_2)
	v_cmp_eq_u32_e64 s2, s2, v46
	s_and_saveexec_b32 s3, s2
	s_cbranch_execz .LBB2_1136
; %bb.1131:
	s_wait_loadcnt 0x0
	v_mov_b32_e32 v0, 0
	s_wait_kmcnt 0x0
	s_mov_b32 s4, exec_lo
	global_load_b64 v[6:7], v0, s[20:21] offset:24 scope:SCOPE_SYS
	s_wait_loadcnt 0x0
	global_inv scope:SCOPE_SYS
	s_clause 0x1
	global_load_b64 v[2:3], v0, s[20:21] offset:40
	global_load_b64 v[4:5], v0, s[20:21]
	s_wait_loadcnt 0x1
	v_and_b32_e32 v2, v2, v6
	v_and_b32_e32 v3, v3, v7
	s_delay_alu instid0(VALU_DEP_1) | instskip(SKIP_1) | instid1(VALU_DEP_1)
	v_mul_u64_e32 v[2:3], 24, v[2:3]
	s_wait_loadcnt 0x0
	v_add_nc_u64_e32 v[2:3], v[4:5], v[2:3]
	global_load_b64 v[4:5], v[2:3], off scope:SCOPE_SYS
	s_wait_xcnt 0x0
	s_wait_loadcnt 0x0
	global_atomic_cmpswap_b64 v[4:5], v0, v[4:7], s[20:21] offset:24 th:TH_ATOMIC_RETURN scope:SCOPE_SYS
	s_wait_loadcnt 0x0
	global_inv scope:SCOPE_SYS
	s_wait_xcnt 0x0
	v_cmpx_ne_u64_e64 v[4:5], v[6:7]
	s_cbranch_execz .LBB2_1135
; %bb.1132:
	s_mov_b32 s5, 0
.LBB2_1133:                             ; =>This Inner Loop Header: Depth=1
	s_sleep 1
	s_clause 0x1
	global_load_b64 v[2:3], v0, s[20:21] offset:40
	global_load_b64 v[8:9], v0, s[20:21]
	v_mov_b64_e32 v[6:7], v[4:5]
	s_wait_loadcnt 0x1
	s_delay_alu instid0(VALU_DEP_1) | instskip(SKIP_1) | instid1(VALU_DEP_1)
	v_and_b32_e32 v1, v2, v6
	s_wait_loadcnt 0x0
	v_mad_nc_u64_u32 v[4:5], v1, 24, v[8:9]
	s_delay_alu instid0(VALU_DEP_3) | instskip(NEXT) | instid1(VALU_DEP_1)
	v_and_b32_e32 v1, v3, v7
	v_mad_u32 v5, v1, 24, v5
	global_load_b64 v[4:5], v[4:5], off scope:SCOPE_SYS
	s_wait_xcnt 0x0
	s_wait_loadcnt 0x0
	global_atomic_cmpswap_b64 v[4:5], v0, v[4:7], s[20:21] offset:24 th:TH_ATOMIC_RETURN scope:SCOPE_SYS
	s_wait_loadcnt 0x0
	global_inv scope:SCOPE_SYS
	v_cmp_eq_u64_e32 vcc_lo, v[4:5], v[6:7]
	s_or_b32 s5, vcc_lo, s5
	s_wait_xcnt 0x0
	s_and_not1_b32 exec_lo, exec_lo, s5
	s_cbranch_execnz .LBB2_1133
; %bb.1134:
	s_or_b32 exec_lo, exec_lo, s5
.LBB2_1135:
	s_delay_alu instid0(SALU_CYCLE_1)
	s_or_b32 exec_lo, exec_lo, s4
.LBB2_1136:
	s_delay_alu instid0(SALU_CYCLE_1)
	s_or_b32 exec_lo, exec_lo, s3
	s_wait_kmcnt 0x0
	v_readfirstlane_b32 s4, v4
	v_mov_b32_e32 v39, 0
	v_readfirstlane_b32 s5, v5
	s_mov_b32 s3, exec_lo
	s_wait_loadcnt 0x0
	s_clause 0x1
	global_load_b64 v[6:7], v39, s[20:21] offset:40
	global_load_b128 v[0:3], v39, s[20:21]
	s_wait_loadcnt 0x1
	v_and_b32_e32 v6, s4, v6
	v_and_b32_e32 v7, s5, v7
	s_delay_alu instid0(VALU_DEP_1) | instskip(SKIP_1) | instid1(VALU_DEP_1)
	v_mul_u64_e32 v[4:5], 24, v[6:7]
	s_wait_loadcnt 0x0
	v_add_nc_u64_e32 v[4:5], v[0:1], v[4:5]
	s_wait_xcnt 0x0
	s_and_saveexec_b32 s6, s2
	s_cbranch_execz .LBB2_1138
; %bb.1137:
	v_mov_b64_e32 v[10:11], 0x100000002
	v_dual_mov_b32 v8, s3 :: v_dual_mov_b32 v9, v39
	global_store_b128 v[4:5], v[8:11], off offset:8
.LBB2_1138:
	s_wait_xcnt 0x0
	s_or_b32 exec_lo, exec_lo, s6
	v_lshlrev_b64_e32 v[6:7], 12, v[6:7]
	s_mov_b32 s8, 0
	v_dual_mov_b32 v8, 33 :: v_dual_mov_b32 v9, v39
	s_mov_b32 s10, s8
	s_mov_b32 s11, s8
	;; [unrolled: 1-line block ×3, first 2 shown]
	s_delay_alu instid0(VALU_DEP_2) | instskip(SKIP_3) | instid1(VALU_DEP_4)
	v_add_nc_u64_e32 v[6:7], v[2:3], v[6:7]
	v_mov_b64_e32 v[14:15], s[10:11]
	v_mov_b64_e32 v[12:13], s[8:9]
	v_dual_mov_b32 v10, v39 :: v_dual_mov_b32 v11, v39
	v_readfirstlane_b32 s6, v6
	v_readfirstlane_b32 s7, v7
	s_clause 0x3
	global_store_b128 v38, v[8:11], s[6:7]
	global_store_b128 v38, v[12:15], s[6:7] offset:16
	global_store_b128 v38, v[12:15], s[6:7] offset:32
	;; [unrolled: 1-line block ×3, first 2 shown]
	s_wait_xcnt 0x0
	s_and_saveexec_b32 s3, s2
	s_cbranch_execz .LBB2_1146
; %bb.1139:
	v_dual_mov_b32 v10, 0 :: v_dual_mov_b32 v13, s5
	s_mov_b32 s6, exec_lo
	s_clause 0x1
	global_load_b64 v[14:15], v10, s[20:21] offset:32 scope:SCOPE_SYS
	global_load_b64 v[2:3], v10, s[20:21] offset:40
	s_wait_loadcnt 0x0
	v_dual_mov_b32 v12, s4 :: v_dual_bitop2_b32 v3, s5, v3 bitop3:0x40
	v_and_b32_e32 v2, s4, v2
	s_delay_alu instid0(VALU_DEP_1) | instskip(NEXT) | instid1(VALU_DEP_1)
	v_mul_u64_e32 v[2:3], 24, v[2:3]
	v_add_nc_u64_e32 v[8:9], v[0:1], v[2:3]
	global_store_b64 v[8:9], v[14:15], off
	global_wb scope:SCOPE_SYS
	s_wait_storecnt 0x0
	s_wait_xcnt 0x0
	global_atomic_cmpswap_b64 v[2:3], v10, v[12:15], s[20:21] offset:32 th:TH_ATOMIC_RETURN scope:SCOPE_SYS
	s_wait_loadcnt 0x0
	v_cmpx_ne_u64_e64 v[2:3], v[14:15]
	s_cbranch_execz .LBB2_1142
; %bb.1140:
	s_mov_b32 s7, 0
.LBB2_1141:                             ; =>This Inner Loop Header: Depth=1
	v_dual_mov_b32 v0, s4 :: v_dual_mov_b32 v1, s5
	s_sleep 1
	global_store_b64 v[8:9], v[2:3], off
	global_wb scope:SCOPE_SYS
	s_wait_storecnt 0x0
	s_wait_xcnt 0x0
	global_atomic_cmpswap_b64 v[0:1], v10, v[0:3], s[20:21] offset:32 th:TH_ATOMIC_RETURN scope:SCOPE_SYS
	s_wait_loadcnt 0x0
	v_cmp_eq_u64_e32 vcc_lo, v[0:1], v[2:3]
	v_mov_b64_e32 v[2:3], v[0:1]
	s_or_b32 s7, vcc_lo, s7
	s_delay_alu instid0(SALU_CYCLE_1)
	s_and_not1_b32 exec_lo, exec_lo, s7
	s_cbranch_execnz .LBB2_1141
.LBB2_1142:
	s_or_b32 exec_lo, exec_lo, s6
	v_mov_b32_e32 v3, 0
	s_mov_b32 s7, exec_lo
	s_mov_b32 s6, exec_lo
	v_mbcnt_lo_u32_b32 v2, s7, 0
	global_load_b64 v[0:1], v3, s[20:21] offset:16
	s_wait_xcnt 0x0
	v_cmpx_eq_u32_e32 0, v2
	s_cbranch_execz .LBB2_1144
; %bb.1143:
	s_bcnt1_i32_b32 s7, s7
	s_delay_alu instid0(SALU_CYCLE_1)
	v_mov_b32_e32 v2, s7
	global_wb scope:SCOPE_SYS
	s_wait_loadcnt 0x0
	s_wait_storecnt 0x0
	global_atomic_add_u64 v[0:1], v[2:3], off offset:8 scope:SCOPE_SYS
.LBB2_1144:
	s_wait_xcnt 0x0
	s_or_b32 exec_lo, exec_lo, s6
	s_wait_loadcnt 0x0
	global_load_b64 v[2:3], v[0:1], off offset:16
	s_wait_loadcnt 0x0
	v_cmp_eq_u64_e32 vcc_lo, 0, v[2:3]
	s_cbranch_vccnz .LBB2_1146
; %bb.1145:
	global_load_b32 v0, v[0:1], off offset:24
	s_wait_xcnt 0x0
	v_mov_b32_e32 v1, 0
	s_wait_loadcnt 0x0
	v_readfirstlane_b32 s6, v0
	global_wb scope:SCOPE_SYS
	s_wait_storecnt 0x0
	global_store_b64 v[2:3], v[0:1], off scope:SCOPE_SYS
	s_and_b32 m0, s6, 0xffffff
	s_sendmsg sendmsg(MSG_INTERRUPT)
.LBB2_1146:
	s_wait_xcnt 0x0
	s_or_b32 exec_lo, exec_lo, s3
	v_add_nc_u64_e32 v[0:1], v[6:7], v[38:39]
	s_branch .LBB2_1150
.LBB2_1147:                             ;   in Loop: Header=BB2_1150 Depth=1
	s_wait_xcnt 0x0
	s_or_b32 exec_lo, exec_lo, s3
	s_delay_alu instid0(VALU_DEP_1)
	v_readfirstlane_b32 s3, v2
	s_cmp_eq_u32 s3, 0
	s_cbranch_scc1 .LBB2_1149
; %bb.1148:                             ;   in Loop: Header=BB2_1150 Depth=1
	s_sleep 1
	s_cbranch_execnz .LBB2_1150
	s_branch .LBB2_1152
.LBB2_1149:
	s_branch .LBB2_1152
.LBB2_1150:                             ; =>This Inner Loop Header: Depth=1
	v_mov_b32_e32 v2, 1
	s_and_saveexec_b32 s3, s2
	s_cbranch_execz .LBB2_1147
; %bb.1151:                             ;   in Loop: Header=BB2_1150 Depth=1
	global_load_b32 v2, v[4:5], off offset:20 scope:SCOPE_SYS
	s_wait_loadcnt 0x0
	global_inv scope:SCOPE_SYS
	v_and_b32_e32 v2, 1, v2
	s_branch .LBB2_1147
.LBB2_1152:
	global_load_b64 v[0:1], v[0:1], off
	s_wait_xcnt 0x0
	s_and_saveexec_b32 s6, s2
	s_cbranch_execz .LBB2_1156
; %bb.1153:
	v_mov_b32_e32 v8, 0
	s_clause 0x2
	global_load_b64 v[2:3], v8, s[20:21] offset:40
	global_load_b64 v[12:13], v8, s[20:21] offset:24 scope:SCOPE_SYS
	global_load_b64 v[4:5], v8, s[20:21]
	s_wait_loadcnt 0x2
	v_readfirstlane_b32 s8, v2
	v_readfirstlane_b32 s9, v3
	s_add_nc_u64 s[2:3], s[8:9], 1
	s_delay_alu instid0(SALU_CYCLE_1) | instskip(NEXT) | instid1(SALU_CYCLE_1)
	s_add_nc_u64 s[4:5], s[2:3], s[4:5]
	s_cmp_eq_u64 s[4:5], 0
	s_cselect_b32 s3, s3, s5
	s_cselect_b32 s2, s2, s4
	v_mov_b32_e32 v11, s3
	s_and_b64 s[4:5], s[2:3], s[8:9]
	v_mov_b32_e32 v10, s2
	s_mul_u64 s[4:5], s[4:5], 24
	s_wait_loadcnt 0x0
	v_add_nc_u64_e32 v[6:7], s[4:5], v[4:5]
	global_store_b64 v[6:7], v[12:13], off
	global_wb scope:SCOPE_SYS
	s_wait_storecnt 0x0
	s_wait_xcnt 0x0
	global_atomic_cmpswap_b64 v[4:5], v8, v[10:13], s[20:21] offset:24 th:TH_ATOMIC_RETURN scope:SCOPE_SYS
	s_wait_loadcnt 0x0
	v_cmp_ne_u64_e32 vcc_lo, v[4:5], v[12:13]
	s_and_b32 exec_lo, exec_lo, vcc_lo
	s_cbranch_execz .LBB2_1156
; %bb.1154:
	s_mov_b32 s4, 0
.LBB2_1155:                             ; =>This Inner Loop Header: Depth=1
	v_dual_mov_b32 v2, s2 :: v_dual_mov_b32 v3, s3
	s_sleep 1
	global_store_b64 v[6:7], v[4:5], off
	global_wb scope:SCOPE_SYS
	s_wait_storecnt 0x0
	s_wait_xcnt 0x0
	global_atomic_cmpswap_b64 v[2:3], v8, v[2:5], s[20:21] offset:24 th:TH_ATOMIC_RETURN scope:SCOPE_SYS
	s_wait_loadcnt 0x0
	v_cmp_eq_u64_e32 vcc_lo, v[2:3], v[4:5]
	v_mov_b64_e32 v[4:5], v[2:3]
	s_or_b32 s4, vcc_lo, s4
	s_delay_alu instid0(SALU_CYCLE_1)
	s_and_not1_b32 exec_lo, exec_lo, s4
	s_cbranch_execnz .LBB2_1155
.LBB2_1156:
	s_or_b32 exec_lo, exec_lo, s6
	s_get_pc_i64 s[4:5]
	s_add_nc_u64 s[4:5], s[4:5], .str.8@rel64+4
	s_delay_alu instid0(SALU_CYCLE_1)
	s_cmp_lg_u64 s[4:5], 0
	s_cbranch_scc0 .LBB2_1235
; %bb.1157:
	v_mov_b64_e32 v[4:5], 0x100000002
	s_wait_loadcnt 0x0
	v_dual_mov_b32 v7, v1 :: v_dual_bitop2_b32 v6, -3, v0 bitop3:0x40
	v_mov_b32_e32 v3, 0
	s_mov_b64 s[6:7], 11
	s_branch .LBB2_1159
.LBB2_1158:                             ;   in Loop: Header=BB2_1159 Depth=1
	s_or_b32 exec_lo, exec_lo, s17
	s_sub_nc_u64 s[6:7], s[6:7], s[8:9]
	s_add_nc_u64 s[4:5], s[4:5], s[8:9]
	s_cmp_lg_u64 s[6:7], 0
	s_cbranch_scc0 .LBB2_1234
.LBB2_1159:                             ; =>This Loop Header: Depth=1
                                        ;     Child Loop BB2_1162 Depth 2
                                        ;     Child Loop BB2_1169 Depth 2
	;; [unrolled: 1-line block ×11, first 2 shown]
	s_wait_loadcnt 0x0
	v_min_u64 v[8:9], s[6:7], 56
	v_cmp_gt_u64_e64 s2, s[6:7], 7
	s_and_b32 vcc_lo, exec_lo, s2
	v_readfirstlane_b32 s8, v8
	v_readfirstlane_b32 s9, v9
	s_cbranch_vccnz .LBB2_1164
; %bb.1160:                             ;   in Loop: Header=BB2_1159 Depth=1
	v_mov_b64_e32 v[8:9], 0
	s_cmp_eq_u64 s[6:7], 0
	s_cbranch_scc1 .LBB2_1163
; %bb.1161:                             ;   in Loop: Header=BB2_1159 Depth=1
	s_mov_b64 s[2:3], 0
	s_mov_b64 s[10:11], 0
.LBB2_1162:                             ;   Parent Loop BB2_1159 Depth=1
                                        ; =>  This Inner Loop Header: Depth=2
	s_wait_xcnt 0x0
	s_add_nc_u64 s[26:27], s[4:5], s[10:11]
	s_add_nc_u64 s[10:11], s[10:11], 1
	global_load_u8 v2, v3, s[26:27]
	s_cmp_lg_u32 s8, s10
	s_wait_loadcnt 0x0
	v_and_b32_e32 v2, 0xffff, v2
	s_delay_alu instid0(VALU_DEP_1) | instskip(SKIP_1) | instid1(VALU_DEP_1)
	v_lshlrev_b64_e32 v[10:11], s2, v[2:3]
	s_add_nc_u64 s[2:3], s[2:3], 8
	v_or_b32_e32 v8, v10, v8
	s_delay_alu instid0(VALU_DEP_2)
	v_or_b32_e32 v9, v11, v9
	s_cbranch_scc1 .LBB2_1162
.LBB2_1163:                             ;   in Loop: Header=BB2_1159 Depth=1
	s_mov_b64 s[10:11], s[4:5]
	s_mov_b32 s17, 0
	s_cbranch_execz .LBB2_1165
	s_branch .LBB2_1166
.LBB2_1164:                             ;   in Loop: Header=BB2_1159 Depth=1
	s_add_nc_u64 s[10:11], s[4:5], 8
	s_mov_b32 s17, 0
.LBB2_1165:                             ;   in Loop: Header=BB2_1159 Depth=1
	global_load_b64 v[8:9], v3, s[4:5]
	s_add_co_i32 s17, s8, -8
.LBB2_1166:                             ;   in Loop: Header=BB2_1159 Depth=1
	s_delay_alu instid0(SALU_CYCLE_1)
	s_cmp_gt_u32 s17, 7
	s_cbranch_scc1 .LBB2_1171
; %bb.1167:                             ;   in Loop: Header=BB2_1159 Depth=1
	v_mov_b64_e32 v[10:11], 0
	s_cmp_eq_u32 s17, 0
	s_cbranch_scc1 .LBB2_1170
; %bb.1168:                             ;   in Loop: Header=BB2_1159 Depth=1
	s_mov_b64 s[2:3], 0
	s_wait_xcnt 0x0
	s_mov_b64 s[26:27], 0
.LBB2_1169:                             ;   Parent Loop BB2_1159 Depth=1
                                        ; =>  This Inner Loop Header: Depth=2
	s_wait_xcnt 0x0
	s_add_nc_u64 s[28:29], s[10:11], s[26:27]
	s_add_nc_u64 s[26:27], s[26:27], 1
	global_load_u8 v2, v3, s[28:29]
	s_cmp_lg_u32 s17, s26
	s_wait_loadcnt 0x0
	v_and_b32_e32 v2, 0xffff, v2
	s_delay_alu instid0(VALU_DEP_1) | instskip(SKIP_1) | instid1(VALU_DEP_1)
	v_lshlrev_b64_e32 v[12:13], s2, v[2:3]
	s_add_nc_u64 s[2:3], s[2:3], 8
	v_or_b32_e32 v10, v12, v10
	s_delay_alu instid0(VALU_DEP_2)
	v_or_b32_e32 v11, v13, v11
	s_cbranch_scc1 .LBB2_1169
.LBB2_1170:                             ;   in Loop: Header=BB2_1159 Depth=1
	s_mov_b64 s[2:3], s[10:11]
	s_mov_b32 s19, 0
	s_cbranch_execz .LBB2_1172
	s_branch .LBB2_1173
.LBB2_1171:                             ;   in Loop: Header=BB2_1159 Depth=1
	s_add_nc_u64 s[2:3], s[10:11], 8
                                        ; implicit-def: $vgpr10_vgpr11
	s_mov_b32 s19, 0
.LBB2_1172:                             ;   in Loop: Header=BB2_1159 Depth=1
	global_load_b64 v[10:11], v3, s[10:11]
	s_add_co_i32 s19, s17, -8
.LBB2_1173:                             ;   in Loop: Header=BB2_1159 Depth=1
	s_delay_alu instid0(SALU_CYCLE_1)
	s_cmp_gt_u32 s19, 7
	s_cbranch_scc1 .LBB2_1178
; %bb.1174:                             ;   in Loop: Header=BB2_1159 Depth=1
	v_mov_b64_e32 v[12:13], 0
	s_cmp_eq_u32 s19, 0
	s_cbranch_scc1 .LBB2_1177
; %bb.1175:                             ;   in Loop: Header=BB2_1159 Depth=1
	s_wait_xcnt 0x0
	s_mov_b64 s[10:11], 0
	s_mov_b64 s[26:27], 0
.LBB2_1176:                             ;   Parent Loop BB2_1159 Depth=1
                                        ; =>  This Inner Loop Header: Depth=2
	s_wait_xcnt 0x0
	s_add_nc_u64 s[28:29], s[2:3], s[26:27]
	s_add_nc_u64 s[26:27], s[26:27], 1
	global_load_u8 v2, v3, s[28:29]
	s_cmp_lg_u32 s19, s26
	s_wait_loadcnt 0x0
	v_and_b32_e32 v2, 0xffff, v2
	s_delay_alu instid0(VALU_DEP_1) | instskip(SKIP_1) | instid1(VALU_DEP_1)
	v_lshlrev_b64_e32 v[14:15], s10, v[2:3]
	s_add_nc_u64 s[10:11], s[10:11], 8
	v_or_b32_e32 v12, v14, v12
	s_delay_alu instid0(VALU_DEP_2)
	v_or_b32_e32 v13, v15, v13
	s_cbranch_scc1 .LBB2_1176
.LBB2_1177:                             ;   in Loop: Header=BB2_1159 Depth=1
	s_wait_xcnt 0x0
	s_mov_b64 s[10:11], s[2:3]
	s_mov_b32 s17, 0
	s_cbranch_execz .LBB2_1179
	s_branch .LBB2_1180
.LBB2_1178:                             ;   in Loop: Header=BB2_1159 Depth=1
	s_wait_xcnt 0x0
	s_add_nc_u64 s[10:11], s[2:3], 8
	s_mov_b32 s17, 0
.LBB2_1179:                             ;   in Loop: Header=BB2_1159 Depth=1
	global_load_b64 v[12:13], v3, s[2:3]
	s_add_co_i32 s17, s19, -8
.LBB2_1180:                             ;   in Loop: Header=BB2_1159 Depth=1
	s_delay_alu instid0(SALU_CYCLE_1)
	s_cmp_gt_u32 s17, 7
	s_cbranch_scc1 .LBB2_1185
; %bb.1181:                             ;   in Loop: Header=BB2_1159 Depth=1
	v_mov_b64_e32 v[14:15], 0
	s_cmp_eq_u32 s17, 0
	s_cbranch_scc1 .LBB2_1184
; %bb.1182:                             ;   in Loop: Header=BB2_1159 Depth=1
	s_wait_xcnt 0x0
	s_mov_b64 s[2:3], 0
	s_mov_b64 s[26:27], 0
.LBB2_1183:                             ;   Parent Loop BB2_1159 Depth=1
                                        ; =>  This Inner Loop Header: Depth=2
	s_wait_xcnt 0x0
	s_add_nc_u64 s[28:29], s[10:11], s[26:27]
	s_add_nc_u64 s[26:27], s[26:27], 1
	global_load_u8 v2, v3, s[28:29]
	s_cmp_lg_u32 s17, s26
	s_wait_loadcnt 0x0
	v_and_b32_e32 v2, 0xffff, v2
	s_delay_alu instid0(VALU_DEP_1) | instskip(SKIP_1) | instid1(VALU_DEP_1)
	v_lshlrev_b64_e32 v[16:17], s2, v[2:3]
	s_add_nc_u64 s[2:3], s[2:3], 8
	v_or_b32_e32 v14, v16, v14
	s_delay_alu instid0(VALU_DEP_2)
	v_or_b32_e32 v15, v17, v15
	s_cbranch_scc1 .LBB2_1183
.LBB2_1184:                             ;   in Loop: Header=BB2_1159 Depth=1
	s_wait_xcnt 0x0
	s_mov_b64 s[2:3], s[10:11]
	s_mov_b32 s19, 0
	s_cbranch_execz .LBB2_1186
	s_branch .LBB2_1187
.LBB2_1185:                             ;   in Loop: Header=BB2_1159 Depth=1
	s_wait_xcnt 0x0
	s_add_nc_u64 s[2:3], s[10:11], 8
                                        ; implicit-def: $vgpr14_vgpr15
	s_mov_b32 s19, 0
.LBB2_1186:                             ;   in Loop: Header=BB2_1159 Depth=1
	global_load_b64 v[14:15], v3, s[10:11]
	s_add_co_i32 s19, s17, -8
.LBB2_1187:                             ;   in Loop: Header=BB2_1159 Depth=1
	s_delay_alu instid0(SALU_CYCLE_1)
	s_cmp_gt_u32 s19, 7
	s_cbranch_scc1 .LBB2_1192
; %bb.1188:                             ;   in Loop: Header=BB2_1159 Depth=1
	v_mov_b64_e32 v[16:17], 0
	s_cmp_eq_u32 s19, 0
	s_cbranch_scc1 .LBB2_1191
; %bb.1189:                             ;   in Loop: Header=BB2_1159 Depth=1
	s_wait_xcnt 0x0
	s_mov_b64 s[10:11], 0
	s_mov_b64 s[26:27], 0
.LBB2_1190:                             ;   Parent Loop BB2_1159 Depth=1
                                        ; =>  This Inner Loop Header: Depth=2
	s_wait_xcnt 0x0
	s_add_nc_u64 s[28:29], s[2:3], s[26:27]
	s_add_nc_u64 s[26:27], s[26:27], 1
	global_load_u8 v2, v3, s[28:29]
	s_cmp_lg_u32 s19, s26
	s_wait_loadcnt 0x0
	v_and_b32_e32 v2, 0xffff, v2
	s_delay_alu instid0(VALU_DEP_1) | instskip(SKIP_1) | instid1(VALU_DEP_1)
	v_lshlrev_b64_e32 v[18:19], s10, v[2:3]
	s_add_nc_u64 s[10:11], s[10:11], 8
	v_or_b32_e32 v16, v18, v16
	s_delay_alu instid0(VALU_DEP_2)
	v_or_b32_e32 v17, v19, v17
	s_cbranch_scc1 .LBB2_1190
.LBB2_1191:                             ;   in Loop: Header=BB2_1159 Depth=1
	s_wait_xcnt 0x0
	s_mov_b64 s[10:11], s[2:3]
	s_mov_b32 s17, 0
	s_cbranch_execz .LBB2_1193
	s_branch .LBB2_1194
.LBB2_1192:                             ;   in Loop: Header=BB2_1159 Depth=1
	s_wait_xcnt 0x0
	s_add_nc_u64 s[10:11], s[2:3], 8
	s_mov_b32 s17, 0
.LBB2_1193:                             ;   in Loop: Header=BB2_1159 Depth=1
	global_load_b64 v[16:17], v3, s[2:3]
	s_add_co_i32 s17, s19, -8
.LBB2_1194:                             ;   in Loop: Header=BB2_1159 Depth=1
	s_delay_alu instid0(SALU_CYCLE_1)
	s_cmp_gt_u32 s17, 7
	s_cbranch_scc1 .LBB2_1199
; %bb.1195:                             ;   in Loop: Header=BB2_1159 Depth=1
	v_mov_b64_e32 v[18:19], 0
	s_cmp_eq_u32 s17, 0
	s_cbranch_scc1 .LBB2_1198
; %bb.1196:                             ;   in Loop: Header=BB2_1159 Depth=1
	s_wait_xcnt 0x0
	s_mov_b64 s[2:3], 0
	s_mov_b64 s[26:27], 0
.LBB2_1197:                             ;   Parent Loop BB2_1159 Depth=1
                                        ; =>  This Inner Loop Header: Depth=2
	s_wait_xcnt 0x0
	s_add_nc_u64 s[28:29], s[10:11], s[26:27]
	s_add_nc_u64 s[26:27], s[26:27], 1
	global_load_u8 v2, v3, s[28:29]
	s_cmp_lg_u32 s17, s26
	s_wait_loadcnt 0x0
	v_and_b32_e32 v2, 0xffff, v2
	s_delay_alu instid0(VALU_DEP_1) | instskip(SKIP_1) | instid1(VALU_DEP_1)
	v_lshlrev_b64_e32 v[20:21], s2, v[2:3]
	s_add_nc_u64 s[2:3], s[2:3], 8
	v_or_b32_e32 v18, v20, v18
	s_delay_alu instid0(VALU_DEP_2)
	v_or_b32_e32 v19, v21, v19
	s_cbranch_scc1 .LBB2_1197
.LBB2_1198:                             ;   in Loop: Header=BB2_1159 Depth=1
	s_wait_xcnt 0x0
	s_mov_b64 s[2:3], s[10:11]
	s_mov_b32 s19, 0
	s_cbranch_execz .LBB2_1200
	s_branch .LBB2_1201
.LBB2_1199:                             ;   in Loop: Header=BB2_1159 Depth=1
	s_wait_xcnt 0x0
	s_add_nc_u64 s[2:3], s[10:11], 8
                                        ; implicit-def: $vgpr18_vgpr19
	s_mov_b32 s19, 0
.LBB2_1200:                             ;   in Loop: Header=BB2_1159 Depth=1
	global_load_b64 v[18:19], v3, s[10:11]
	s_add_co_i32 s19, s17, -8
.LBB2_1201:                             ;   in Loop: Header=BB2_1159 Depth=1
	s_delay_alu instid0(SALU_CYCLE_1)
	s_cmp_gt_u32 s19, 7
	s_cbranch_scc1 .LBB2_1206
; %bb.1202:                             ;   in Loop: Header=BB2_1159 Depth=1
	v_mov_b64_e32 v[20:21], 0
	s_cmp_eq_u32 s19, 0
	s_cbranch_scc1 .LBB2_1205
; %bb.1203:                             ;   in Loop: Header=BB2_1159 Depth=1
	s_wait_xcnt 0x0
	s_mov_b64 s[10:11], 0
	s_mov_b64 s[26:27], s[2:3]
.LBB2_1204:                             ;   Parent Loop BB2_1159 Depth=1
                                        ; =>  This Inner Loop Header: Depth=2
	global_load_u8 v2, v3, s[26:27]
	s_add_co_i32 s19, s19, -1
	s_wait_xcnt 0x0
	s_add_nc_u64 s[26:27], s[26:27], 1
	s_cmp_lg_u32 s19, 0
	s_wait_loadcnt 0x0
	v_and_b32_e32 v2, 0xffff, v2
	s_delay_alu instid0(VALU_DEP_1) | instskip(SKIP_1) | instid1(VALU_DEP_1)
	v_lshlrev_b64_e32 v[22:23], s10, v[2:3]
	s_add_nc_u64 s[10:11], s[10:11], 8
	v_or_b32_e32 v20, v22, v20
	s_delay_alu instid0(VALU_DEP_2)
	v_or_b32_e32 v21, v23, v21
	s_cbranch_scc1 .LBB2_1204
.LBB2_1205:                             ;   in Loop: Header=BB2_1159 Depth=1
	s_wait_xcnt 0x0
	s_cbranch_execz .LBB2_1207
	s_branch .LBB2_1208
.LBB2_1206:                             ;   in Loop: Header=BB2_1159 Depth=1
	s_wait_xcnt 0x0
.LBB2_1207:                             ;   in Loop: Header=BB2_1159 Depth=1
	global_load_b64 v[20:21], v3, s[2:3]
.LBB2_1208:                             ;   in Loop: Header=BB2_1159 Depth=1
	s_wait_xcnt 0x0
	v_readfirstlane_b32 s2, v46
	v_mov_b64_e32 v[26:27], 0
	s_delay_alu instid0(VALU_DEP_2)
	v_cmp_eq_u32_e64 s2, s2, v46
	s_and_saveexec_b32 s3, s2
	s_cbranch_execz .LBB2_1214
; %bb.1209:                             ;   in Loop: Header=BB2_1159 Depth=1
	global_load_b64 v[24:25], v3, s[20:21] offset:24 scope:SCOPE_SYS
	s_wait_loadcnt 0x0
	global_inv scope:SCOPE_SYS
	s_clause 0x1
	global_load_b64 v[22:23], v3, s[20:21] offset:40
	global_load_b64 v[26:27], v3, s[20:21]
	s_mov_b32 s10, exec_lo
	s_wait_loadcnt 0x1
	v_and_b32_e32 v22, v22, v24
	v_and_b32_e32 v23, v23, v25
	s_delay_alu instid0(VALU_DEP_1) | instskip(SKIP_1) | instid1(VALU_DEP_1)
	v_mul_u64_e32 v[22:23], 24, v[22:23]
	s_wait_loadcnt 0x0
	v_add_nc_u64_e32 v[22:23], v[26:27], v[22:23]
	global_load_b64 v[22:23], v[22:23], off scope:SCOPE_SYS
	s_wait_xcnt 0x0
	s_wait_loadcnt 0x0
	global_atomic_cmpswap_b64 v[26:27], v3, v[22:25], s[20:21] offset:24 th:TH_ATOMIC_RETURN scope:SCOPE_SYS
	s_wait_loadcnt 0x0
	global_inv scope:SCOPE_SYS
	s_wait_xcnt 0x0
	v_cmpx_ne_u64_e64 v[26:27], v[24:25]
	s_cbranch_execz .LBB2_1213
; %bb.1210:                             ;   in Loop: Header=BB2_1159 Depth=1
	s_mov_b32 s11, 0
.LBB2_1211:                             ;   Parent Loop BB2_1159 Depth=1
                                        ; =>  This Inner Loop Header: Depth=2
	s_sleep 1
	s_clause 0x1
	global_load_b64 v[22:23], v3, s[20:21] offset:40
	global_load_b64 v[28:29], v3, s[20:21]
	v_mov_b64_e32 v[24:25], v[26:27]
	s_wait_loadcnt 0x1
	s_delay_alu instid0(VALU_DEP_1) | instskip(SKIP_1) | instid1(VALU_DEP_1)
	v_and_b32_e32 v2, v22, v24
	s_wait_loadcnt 0x0
	v_mad_nc_u64_u32 v[26:27], v2, 24, v[28:29]
	s_delay_alu instid0(VALU_DEP_3) | instskip(NEXT) | instid1(VALU_DEP_1)
	v_and_b32_e32 v2, v23, v25
	v_mad_u32 v27, v2, 24, v27
	global_load_b64 v[22:23], v[26:27], off scope:SCOPE_SYS
	s_wait_xcnt 0x0
	s_wait_loadcnt 0x0
	global_atomic_cmpswap_b64 v[26:27], v3, v[22:25], s[20:21] offset:24 th:TH_ATOMIC_RETURN scope:SCOPE_SYS
	s_wait_loadcnt 0x0
	global_inv scope:SCOPE_SYS
	v_cmp_eq_u64_e32 vcc_lo, v[26:27], v[24:25]
	s_or_b32 s11, vcc_lo, s11
	s_wait_xcnt 0x0
	s_and_not1_b32 exec_lo, exec_lo, s11
	s_cbranch_execnz .LBB2_1211
; %bb.1212:                             ;   in Loop: Header=BB2_1159 Depth=1
	s_or_b32 exec_lo, exec_lo, s11
.LBB2_1213:                             ;   in Loop: Header=BB2_1159 Depth=1
	s_delay_alu instid0(SALU_CYCLE_1)
	s_or_b32 exec_lo, exec_lo, s10
.LBB2_1214:                             ;   in Loop: Header=BB2_1159 Depth=1
	s_delay_alu instid0(SALU_CYCLE_1)
	s_or_b32 exec_lo, exec_lo, s3
	s_clause 0x1
	global_load_b64 v[28:29], v3, s[20:21] offset:40
	global_load_b128 v[22:25], v3, s[20:21]
	v_readfirstlane_b32 s10, v26
	v_readfirstlane_b32 s11, v27
	s_mov_b32 s3, exec_lo
	s_wait_loadcnt 0x1
	v_and_b32_e32 v28, s10, v28
	v_and_b32_e32 v29, s11, v29
	s_delay_alu instid0(VALU_DEP_1) | instskip(SKIP_1) | instid1(VALU_DEP_1)
	v_mul_u64_e32 v[26:27], 24, v[28:29]
	s_wait_loadcnt 0x0
	v_add_nc_u64_e32 v[26:27], v[22:23], v[26:27]
	s_wait_xcnt 0x0
	s_and_saveexec_b32 s17, s2
	s_cbranch_execz .LBB2_1216
; %bb.1215:                             ;   in Loop: Header=BB2_1159 Depth=1
	v_mov_b32_e32 v2, s3
	global_store_b128 v[26:27], v[2:5], off offset:8
.LBB2_1216:                             ;   in Loop: Header=BB2_1159 Depth=1
	s_wait_xcnt 0x0
	s_or_b32 exec_lo, exec_lo, s17
	v_cmp_gt_u64_e64 s3, s[6:7], 56
	v_lshlrev_b64_e32 v[28:29], 12, v[28:29]
	v_and_b32_e32 v2, 0xffffff1f, v6
	s_and_b32 s3, s3, exec_lo
	s_delay_alu instid0(VALU_DEP_2) | instskip(SKIP_4) | instid1(VALU_DEP_2)
	v_add_nc_u64_e32 v[24:25], v[24:25], v[28:29]
	s_cselect_b32 s3, 0, 2
	s_lshl_b32 s17, s8, 2
	v_or_b32_e32 v2, s3, v2
	s_add_co_i32 s17, s17, 28
	v_readfirstlane_b32 s26, v24
	s_delay_alu instid0(VALU_DEP_3) | instskip(NEXT) | instid1(VALU_DEP_3)
	v_readfirstlane_b32 s27, v25
	v_and_or_b32 v6, 0x1e0, s17, v2
	s_clause 0x3
	global_store_b128 v38, v[6:9], s[26:27]
	global_store_b128 v38, v[10:13], s[26:27] offset:16
	global_store_b128 v38, v[14:17], s[26:27] offset:32
	;; [unrolled: 1-line block ×3, first 2 shown]
	s_wait_xcnt 0x0
	s_and_saveexec_b32 s3, s2
	s_cbranch_execz .LBB2_1224
; %bb.1217:                             ;   in Loop: Header=BB2_1159 Depth=1
	s_clause 0x1
	global_load_b64 v[14:15], v3, s[20:21] offset:32 scope:SCOPE_SYS
	global_load_b64 v[6:7], v3, s[20:21] offset:40
	s_mov_b32 s17, exec_lo
	v_dual_mov_b32 v12, s10 :: v_dual_mov_b32 v13, s11
	s_wait_loadcnt 0x0
	v_and_b32_e32 v7, s11, v7
	v_and_b32_e32 v6, s10, v6
	s_delay_alu instid0(VALU_DEP_1) | instskip(NEXT) | instid1(VALU_DEP_1)
	v_mul_u64_e32 v[6:7], 24, v[6:7]
	v_add_nc_u64_e32 v[10:11], v[22:23], v[6:7]
	global_store_b64 v[10:11], v[14:15], off
	global_wb scope:SCOPE_SYS
	s_wait_storecnt 0x0
	s_wait_xcnt 0x0
	global_atomic_cmpswap_b64 v[8:9], v3, v[12:15], s[20:21] offset:32 th:TH_ATOMIC_RETURN scope:SCOPE_SYS
	s_wait_loadcnt 0x0
	v_cmpx_ne_u64_e64 v[8:9], v[14:15]
	s_cbranch_execz .LBB2_1220
; %bb.1218:                             ;   in Loop: Header=BB2_1159 Depth=1
	s_mov_b32 s19, 0
.LBB2_1219:                             ;   Parent Loop BB2_1159 Depth=1
                                        ; =>  This Inner Loop Header: Depth=2
	v_dual_mov_b32 v6, s10 :: v_dual_mov_b32 v7, s11
	s_sleep 1
	global_store_b64 v[10:11], v[8:9], off
	global_wb scope:SCOPE_SYS
	s_wait_storecnt 0x0
	s_wait_xcnt 0x0
	global_atomic_cmpswap_b64 v[6:7], v3, v[6:9], s[20:21] offset:32 th:TH_ATOMIC_RETURN scope:SCOPE_SYS
	s_wait_loadcnt 0x0
	v_cmp_eq_u64_e32 vcc_lo, v[6:7], v[8:9]
	v_mov_b64_e32 v[8:9], v[6:7]
	s_or_b32 s19, vcc_lo, s19
	s_delay_alu instid0(SALU_CYCLE_1)
	s_and_not1_b32 exec_lo, exec_lo, s19
	s_cbranch_execnz .LBB2_1219
.LBB2_1220:                             ;   in Loop: Header=BB2_1159 Depth=1
	s_or_b32 exec_lo, exec_lo, s17
	global_load_b64 v[6:7], v3, s[20:21] offset:16
	s_mov_b32 s19, exec_lo
	s_mov_b32 s17, exec_lo
	v_mbcnt_lo_u32_b32 v2, s19, 0
	s_wait_xcnt 0x0
	s_delay_alu instid0(VALU_DEP_1)
	v_cmpx_eq_u32_e32 0, v2
	s_cbranch_execz .LBB2_1222
; %bb.1221:                             ;   in Loop: Header=BB2_1159 Depth=1
	s_bcnt1_i32_b32 s19, s19
	s_delay_alu instid0(SALU_CYCLE_1)
	v_mov_b32_e32 v2, s19
	global_wb scope:SCOPE_SYS
	s_wait_loadcnt 0x0
	s_wait_storecnt 0x0
	global_atomic_add_u64 v[6:7], v[2:3], off offset:8 scope:SCOPE_SYS
.LBB2_1222:                             ;   in Loop: Header=BB2_1159 Depth=1
	s_wait_xcnt 0x0
	s_or_b32 exec_lo, exec_lo, s17
	s_wait_loadcnt 0x0
	global_load_b64 v[8:9], v[6:7], off offset:16
	s_wait_loadcnt 0x0
	v_cmp_eq_u64_e32 vcc_lo, 0, v[8:9]
	s_cbranch_vccnz .LBB2_1224
; %bb.1223:                             ;   in Loop: Header=BB2_1159 Depth=1
	global_load_b32 v2, v[6:7], off offset:24
	s_wait_loadcnt 0x0
	v_readfirstlane_b32 s17, v2
	global_wb scope:SCOPE_SYS
	s_wait_storecnt 0x0
	s_wait_xcnt 0x0
	global_store_b64 v[8:9], v[2:3], off scope:SCOPE_SYS
	s_and_b32 m0, s17, 0xffffff
	s_sendmsg sendmsg(MSG_INTERRUPT)
.LBB2_1224:                             ;   in Loop: Header=BB2_1159 Depth=1
	s_wait_xcnt 0x0
	s_or_b32 exec_lo, exec_lo, s3
	v_mov_b32_e32 v39, v3
	s_delay_alu instid0(VALU_DEP_1)
	v_add_nc_u64_e32 v[6:7], v[24:25], v[38:39]
	s_branch .LBB2_1228
.LBB2_1225:                             ;   in Loop: Header=BB2_1228 Depth=2
	s_wait_xcnt 0x0
	s_or_b32 exec_lo, exec_lo, s3
	s_delay_alu instid0(VALU_DEP_1)
	v_readfirstlane_b32 s3, v2
	s_cmp_eq_u32 s3, 0
	s_cbranch_scc1 .LBB2_1227
; %bb.1226:                             ;   in Loop: Header=BB2_1228 Depth=2
	s_sleep 1
	s_cbranch_execnz .LBB2_1228
	s_branch .LBB2_1230
.LBB2_1227:                             ;   in Loop: Header=BB2_1159 Depth=1
	s_branch .LBB2_1230
.LBB2_1228:                             ;   Parent Loop BB2_1159 Depth=1
                                        ; =>  This Inner Loop Header: Depth=2
	v_mov_b32_e32 v2, 1
	s_and_saveexec_b32 s3, s2
	s_cbranch_execz .LBB2_1225
; %bb.1229:                             ;   in Loop: Header=BB2_1228 Depth=2
	global_load_b32 v2, v[26:27], off offset:20 scope:SCOPE_SYS
	s_wait_loadcnt 0x0
	global_inv scope:SCOPE_SYS
	v_and_b32_e32 v2, 1, v2
	s_branch .LBB2_1225
.LBB2_1230:                             ;   in Loop: Header=BB2_1159 Depth=1
	global_load_b128 v[6:9], v[6:7], off
	s_wait_xcnt 0x0
	s_and_saveexec_b32 s17, s2
	s_cbranch_execz .LBB2_1158
; %bb.1231:                             ;   in Loop: Header=BB2_1159 Depth=1
	s_wait_loadcnt 0x0
	s_clause 0x2
	global_load_b64 v[8:9], v3, s[20:21] offset:40
	global_load_b64 v[16:17], v3, s[20:21] offset:24 scope:SCOPE_SYS
	global_load_b64 v[10:11], v3, s[20:21]
	s_wait_loadcnt 0x2
	v_readfirstlane_b32 s26, v8
	v_readfirstlane_b32 s27, v9
	s_add_nc_u64 s[2:3], s[26:27], 1
	s_delay_alu instid0(SALU_CYCLE_1) | instskip(NEXT) | instid1(SALU_CYCLE_1)
	s_add_nc_u64 s[10:11], s[2:3], s[10:11]
	s_cmp_eq_u64 s[10:11], 0
	s_cselect_b32 s3, s3, s11
	s_cselect_b32 s2, s2, s10
	s_delay_alu instid0(SALU_CYCLE_1) | instskip(SKIP_1) | instid1(SALU_CYCLE_1)
	v_dual_mov_b32 v15, s3 :: v_dual_mov_b32 v14, s2
	s_and_b64 s[10:11], s[2:3], s[26:27]
	s_mul_u64 s[10:11], s[10:11], 24
	s_wait_loadcnt 0x0
	v_add_nc_u64_e32 v[12:13], s[10:11], v[10:11]
	global_store_b64 v[12:13], v[16:17], off
	global_wb scope:SCOPE_SYS
	s_wait_storecnt 0x0
	s_wait_xcnt 0x0
	global_atomic_cmpswap_b64 v[10:11], v3, v[14:17], s[20:21] offset:24 th:TH_ATOMIC_RETURN scope:SCOPE_SYS
	s_wait_loadcnt 0x0
	v_cmp_ne_u64_e32 vcc_lo, v[10:11], v[16:17]
	s_and_b32 exec_lo, exec_lo, vcc_lo
	s_cbranch_execz .LBB2_1158
; %bb.1232:                             ;   in Loop: Header=BB2_1159 Depth=1
	s_mov_b32 s10, 0
.LBB2_1233:                             ;   Parent Loop BB2_1159 Depth=1
                                        ; =>  This Inner Loop Header: Depth=2
	v_dual_mov_b32 v8, s2 :: v_dual_mov_b32 v9, s3
	s_sleep 1
	global_store_b64 v[12:13], v[10:11], off
	global_wb scope:SCOPE_SYS
	s_wait_storecnt 0x0
	s_wait_xcnt 0x0
	global_atomic_cmpswap_b64 v[8:9], v3, v[8:11], s[20:21] offset:24 th:TH_ATOMIC_RETURN scope:SCOPE_SYS
	s_wait_loadcnt 0x0
	v_cmp_eq_u64_e32 vcc_lo, v[8:9], v[10:11]
	v_mov_b64_e32 v[10:11], v[8:9]
	s_or_b32 s10, vcc_lo, s10
	s_delay_alu instid0(SALU_CYCLE_1)
	s_and_not1_b32 exec_lo, exec_lo, s10
	s_cbranch_execnz .LBB2_1233
	s_branch .LBB2_1158
.LBB2_1234:
	s_branch .LBB2_1263
.LBB2_1235:
	s_cbranch_execz .LBB2_1263
; %bb.1236:
	v_readfirstlane_b32 s2, v46
	s_wait_loadcnt 0x0
	v_mov_b64_e32 v[8:9], 0
	s_delay_alu instid0(VALU_DEP_2)
	v_cmp_eq_u32_e64 s2, s2, v46
	s_and_saveexec_b32 s3, s2
	s_cbranch_execz .LBB2_1242
; %bb.1237:
	v_mov_b32_e32 v2, 0
	s_mov_b32 s4, exec_lo
	global_load_b64 v[6:7], v2, s[20:21] offset:24 scope:SCOPE_SYS
	s_wait_loadcnt 0x0
	global_inv scope:SCOPE_SYS
	s_clause 0x1
	global_load_b64 v[4:5], v2, s[20:21] offset:40
	global_load_b64 v[8:9], v2, s[20:21]
	s_wait_loadcnt 0x1
	v_and_b32_e32 v4, v4, v6
	v_and_b32_e32 v5, v5, v7
	s_delay_alu instid0(VALU_DEP_1) | instskip(SKIP_1) | instid1(VALU_DEP_1)
	v_mul_u64_e32 v[4:5], 24, v[4:5]
	s_wait_loadcnt 0x0
	v_add_nc_u64_e32 v[4:5], v[8:9], v[4:5]
	global_load_b64 v[4:5], v[4:5], off scope:SCOPE_SYS
	s_wait_xcnt 0x0
	s_wait_loadcnt 0x0
	global_atomic_cmpswap_b64 v[8:9], v2, v[4:7], s[20:21] offset:24 th:TH_ATOMIC_RETURN scope:SCOPE_SYS
	s_wait_loadcnt 0x0
	global_inv scope:SCOPE_SYS
	s_wait_xcnt 0x0
	v_cmpx_ne_u64_e64 v[8:9], v[6:7]
	s_cbranch_execz .LBB2_1241
; %bb.1238:
	s_mov_b32 s5, 0
.LBB2_1239:                             ; =>This Inner Loop Header: Depth=1
	s_sleep 1
	s_clause 0x1
	global_load_b64 v[4:5], v2, s[20:21] offset:40
	global_load_b64 v[10:11], v2, s[20:21]
	v_mov_b64_e32 v[6:7], v[8:9]
	s_wait_loadcnt 0x1
	s_delay_alu instid0(VALU_DEP_1) | instskip(SKIP_1) | instid1(VALU_DEP_1)
	v_and_b32_e32 v3, v4, v6
	s_wait_loadcnt 0x0
	v_mad_nc_u64_u32 v[8:9], v3, 24, v[10:11]
	s_delay_alu instid0(VALU_DEP_3) | instskip(NEXT) | instid1(VALU_DEP_1)
	v_and_b32_e32 v3, v5, v7
	v_mad_u32 v9, v3, 24, v9
	global_load_b64 v[4:5], v[8:9], off scope:SCOPE_SYS
	s_wait_xcnt 0x0
	s_wait_loadcnt 0x0
	global_atomic_cmpswap_b64 v[8:9], v2, v[4:7], s[20:21] offset:24 th:TH_ATOMIC_RETURN scope:SCOPE_SYS
	s_wait_loadcnt 0x0
	global_inv scope:SCOPE_SYS
	v_cmp_eq_u64_e32 vcc_lo, v[8:9], v[6:7]
	s_or_b32 s5, vcc_lo, s5
	s_wait_xcnt 0x0
	s_and_not1_b32 exec_lo, exec_lo, s5
	s_cbranch_execnz .LBB2_1239
; %bb.1240:
	s_or_b32 exec_lo, exec_lo, s5
.LBB2_1241:
	s_delay_alu instid0(SALU_CYCLE_1)
	s_or_b32 exec_lo, exec_lo, s4
.LBB2_1242:
	s_delay_alu instid0(SALU_CYCLE_1)
	s_or_b32 exec_lo, exec_lo, s3
	v_readfirstlane_b32 s4, v8
	v_mov_b32_e32 v2, 0
	v_readfirstlane_b32 s5, v9
	s_mov_b32 s3, exec_lo
	s_clause 0x1
	global_load_b64 v[10:11], v2, s[20:21] offset:40
	global_load_b128 v[4:7], v2, s[20:21]
	s_wait_loadcnt 0x1
	v_and_b32_e32 v10, s4, v10
	v_and_b32_e32 v11, s5, v11
	s_delay_alu instid0(VALU_DEP_1) | instskip(SKIP_1) | instid1(VALU_DEP_1)
	v_mul_u64_e32 v[8:9], 24, v[10:11]
	s_wait_loadcnt 0x0
	v_add_nc_u64_e32 v[8:9], v[4:5], v[8:9]
	s_wait_xcnt 0x0
	s_and_saveexec_b32 s6, s2
	s_cbranch_execz .LBB2_1244
; %bb.1243:
	v_mov_b64_e32 v[14:15], 0x100000002
	v_dual_mov_b32 v12, s3 :: v_dual_mov_b32 v13, v2
	global_store_b128 v[8:9], v[12:15], off offset:8
.LBB2_1244:
	s_wait_xcnt 0x0
	s_or_b32 exec_lo, exec_lo, s6
	v_lshlrev_b64_e32 v[10:11], 12, v[10:11]
	s_mov_b32 s8, 0
	v_and_or_b32 v0, 0xffffff1d, v0, 34
	s_mov_b32 s10, s8
	s_mov_b32 s11, s8
	;; [unrolled: 1-line block ×3, first 2 shown]
	v_mov_b32_e32 v3, v2
	v_add_nc_u64_e32 v[6:7], v[6:7], v[10:11]
	v_mov_b64_e32 v[12:13], s[10:11]
	v_mov_b64_e32 v[10:11], s[8:9]
	s_delay_alu instid0(VALU_DEP_3) | instskip(NEXT) | instid1(VALU_DEP_4)
	v_readfirstlane_b32 s6, v6
	v_readfirstlane_b32 s7, v7
	s_clause 0x3
	global_store_b128 v38, v[0:3], s[6:7]
	global_store_b128 v38, v[10:13], s[6:7] offset:16
	global_store_b128 v38, v[10:13], s[6:7] offset:32
	;; [unrolled: 1-line block ×3, first 2 shown]
	s_wait_xcnt 0x0
	s_and_saveexec_b32 s3, s2
	s_cbranch_execz .LBB2_1252
; %bb.1245:
	v_dual_mov_b32 v6, 0 :: v_dual_mov_b32 v11, s5
	s_mov_b32 s6, exec_lo
	s_clause 0x1
	global_load_b64 v[12:13], v6, s[20:21] offset:32 scope:SCOPE_SYS
	global_load_b64 v[0:1], v6, s[20:21] offset:40
	s_wait_loadcnt 0x0
	v_dual_mov_b32 v10, s4 :: v_dual_bitop2_b32 v1, s5, v1 bitop3:0x40
	v_and_b32_e32 v0, s4, v0
	s_delay_alu instid0(VALU_DEP_1) | instskip(NEXT) | instid1(VALU_DEP_1)
	v_mul_u64_e32 v[0:1], 24, v[0:1]
	v_add_nc_u64_e32 v[4:5], v[4:5], v[0:1]
	global_store_b64 v[4:5], v[12:13], off
	global_wb scope:SCOPE_SYS
	s_wait_storecnt 0x0
	s_wait_xcnt 0x0
	global_atomic_cmpswap_b64 v[2:3], v6, v[10:13], s[20:21] offset:32 th:TH_ATOMIC_RETURN scope:SCOPE_SYS
	s_wait_loadcnt 0x0
	v_cmpx_ne_u64_e64 v[2:3], v[12:13]
	s_cbranch_execz .LBB2_1248
; %bb.1246:
	s_mov_b32 s7, 0
.LBB2_1247:                             ; =>This Inner Loop Header: Depth=1
	v_dual_mov_b32 v0, s4 :: v_dual_mov_b32 v1, s5
	s_sleep 1
	global_store_b64 v[4:5], v[2:3], off
	global_wb scope:SCOPE_SYS
	s_wait_storecnt 0x0
	s_wait_xcnt 0x0
	global_atomic_cmpswap_b64 v[0:1], v6, v[0:3], s[20:21] offset:32 th:TH_ATOMIC_RETURN scope:SCOPE_SYS
	s_wait_loadcnt 0x0
	v_cmp_eq_u64_e32 vcc_lo, v[0:1], v[2:3]
	v_mov_b64_e32 v[2:3], v[0:1]
	s_or_b32 s7, vcc_lo, s7
	s_delay_alu instid0(SALU_CYCLE_1)
	s_and_not1_b32 exec_lo, exec_lo, s7
	s_cbranch_execnz .LBB2_1247
.LBB2_1248:
	s_or_b32 exec_lo, exec_lo, s6
	v_mov_b32_e32 v3, 0
	s_mov_b32 s7, exec_lo
	s_mov_b32 s6, exec_lo
	v_mbcnt_lo_u32_b32 v2, s7, 0
	global_load_b64 v[0:1], v3, s[20:21] offset:16
	s_wait_xcnt 0x0
	v_cmpx_eq_u32_e32 0, v2
	s_cbranch_execz .LBB2_1250
; %bb.1249:
	s_bcnt1_i32_b32 s7, s7
	s_delay_alu instid0(SALU_CYCLE_1)
	v_mov_b32_e32 v2, s7
	global_wb scope:SCOPE_SYS
	s_wait_loadcnt 0x0
	s_wait_storecnt 0x0
	global_atomic_add_u64 v[0:1], v[2:3], off offset:8 scope:SCOPE_SYS
.LBB2_1250:
	s_wait_xcnt 0x0
	s_or_b32 exec_lo, exec_lo, s6
	s_wait_loadcnt 0x0
	global_load_b64 v[2:3], v[0:1], off offset:16
	s_wait_loadcnt 0x0
	v_cmp_eq_u64_e32 vcc_lo, 0, v[2:3]
	s_cbranch_vccnz .LBB2_1252
; %bb.1251:
	global_load_b32 v0, v[0:1], off offset:24
	s_wait_xcnt 0x0
	v_mov_b32_e32 v1, 0
	s_wait_loadcnt 0x0
	v_readfirstlane_b32 s6, v0
	global_wb scope:SCOPE_SYS
	s_wait_storecnt 0x0
	global_store_b64 v[2:3], v[0:1], off scope:SCOPE_SYS
	s_and_b32 m0, s6, 0xffffff
	s_sendmsg sendmsg(MSG_INTERRUPT)
.LBB2_1252:
	s_wait_xcnt 0x0
	s_or_b32 exec_lo, exec_lo, s3
	s_branch .LBB2_1256
.LBB2_1253:                             ;   in Loop: Header=BB2_1256 Depth=1
	s_wait_xcnt 0x0
	s_or_b32 exec_lo, exec_lo, s3
	s_delay_alu instid0(VALU_DEP_1)
	v_readfirstlane_b32 s3, v0
	s_cmp_eq_u32 s3, 0
	s_cbranch_scc1 .LBB2_1255
; %bb.1254:                             ;   in Loop: Header=BB2_1256 Depth=1
	s_sleep 1
	s_cbranch_execnz .LBB2_1256
	s_branch .LBB2_1258
.LBB2_1255:
	s_branch .LBB2_1258
.LBB2_1256:                             ; =>This Inner Loop Header: Depth=1
	v_mov_b32_e32 v0, 1
	s_and_saveexec_b32 s3, s2
	s_cbranch_execz .LBB2_1253
; %bb.1257:                             ;   in Loop: Header=BB2_1256 Depth=1
	global_load_b32 v0, v[8:9], off offset:20 scope:SCOPE_SYS
	s_wait_loadcnt 0x0
	global_inv scope:SCOPE_SYS
	v_and_b32_e32 v0, 1, v0
	s_branch .LBB2_1253
.LBB2_1258:
	s_and_saveexec_b32 s6, s2
	s_cbranch_execz .LBB2_1262
; %bb.1259:
	v_mov_b32_e32 v6, 0
	s_clause 0x2
	global_load_b64 v[0:1], v6, s[20:21] offset:40
	global_load_b64 v[10:11], v6, s[20:21] offset:24 scope:SCOPE_SYS
	global_load_b64 v[2:3], v6, s[20:21]
	s_wait_loadcnt 0x2
	v_readfirstlane_b32 s8, v0
	v_readfirstlane_b32 s9, v1
	s_add_nc_u64 s[2:3], s[8:9], 1
	s_delay_alu instid0(SALU_CYCLE_1) | instskip(NEXT) | instid1(SALU_CYCLE_1)
	s_add_nc_u64 s[4:5], s[2:3], s[4:5]
	s_cmp_eq_u64 s[4:5], 0
	s_cselect_b32 s3, s3, s5
	s_cselect_b32 s2, s2, s4
	v_mov_b32_e32 v9, s3
	s_and_b64 s[4:5], s[2:3], s[8:9]
	v_mov_b32_e32 v8, s2
	s_mul_u64 s[4:5], s[4:5], 24
	s_wait_loadcnt 0x0
	v_add_nc_u64_e32 v[4:5], s[4:5], v[2:3]
	global_store_b64 v[4:5], v[10:11], off
	global_wb scope:SCOPE_SYS
	s_wait_storecnt 0x0
	s_wait_xcnt 0x0
	global_atomic_cmpswap_b64 v[2:3], v6, v[8:11], s[20:21] offset:24 th:TH_ATOMIC_RETURN scope:SCOPE_SYS
	s_wait_loadcnt 0x0
	v_cmp_ne_u64_e32 vcc_lo, v[2:3], v[10:11]
	s_and_b32 exec_lo, exec_lo, vcc_lo
	s_cbranch_execz .LBB2_1262
; %bb.1260:
	s_mov_b32 s4, 0
.LBB2_1261:                             ; =>This Inner Loop Header: Depth=1
	v_dual_mov_b32 v0, s2 :: v_dual_mov_b32 v1, s3
	s_sleep 1
	global_store_b64 v[4:5], v[2:3], off
	global_wb scope:SCOPE_SYS
	s_wait_storecnt 0x0
	s_wait_xcnt 0x0
	global_atomic_cmpswap_b64 v[0:1], v6, v[0:3], s[20:21] offset:24 th:TH_ATOMIC_RETURN scope:SCOPE_SYS
	s_wait_loadcnt 0x0
	v_cmp_eq_u64_e32 vcc_lo, v[0:1], v[2:3]
	v_mov_b64_e32 v[2:3], v[0:1]
	s_or_b32 s4, vcc_lo, s4
	s_delay_alu instid0(SALU_CYCLE_1)
	s_and_not1_b32 exec_lo, exec_lo, s4
	s_cbranch_execnz .LBB2_1261
.LBB2_1262:
	s_or_b32 exec_lo, exec_lo, s6
.LBB2_1263:
	s_cmp_lt_i32 s18, 1
	s_cbranch_scc1 .LBB2_1536
; %bb.1264:
	s_mov_b32 s4, 0
	s_wait_loadcnt 0x0
	v_dual_mov_b32 v1, 0 :: v_dual_mov_b32 v34, v38
	s_mov_b32 s6, s4
	s_mov_b32 s7, s4
	;; [unrolled: 1-line block ×3, first 2 shown]
	v_mov_b64_e32 v[10:11], s[6:7]
	v_mov_b64_e32 v[2:3], 0x100000002
	;; [unrolled: 1-line block ×3, first 2 shown]
	v_dual_mov_b32 v4, 33 :: v_dual_mov_b32 v35, v1
	v_dual_mov_b32 v5, v1 :: v_dual_mov_b32 v6, v1
	v_mov_b32_e32 v7, v1
	s_cmp_lg_u64 s[14:15], 0
	s_mov_b32 s19, s4
	s_cselect_b32 s17, -1, 0
	s_branch .LBB2_1266
.LBB2_1265:                             ;   in Loop: Header=BB2_1266 Depth=1
	s_or_b32 exec_lo, exec_lo, s10
	s_add_co_i32 s19, s19, 1
	s_delay_alu instid0(SALU_CYCLE_1)
	s_cmp_eq_u32 s19, s18
	s_cbranch_scc1 .LBB2_1536
.LBB2_1266:                             ; =>This Loop Header: Depth=1
                                        ;     Child Loop BB2_1269 Depth 2
                                        ;     Child Loop BB2_1277 Depth 2
	;; [unrolled: 1-line block ×9, first 2 shown]
                                        ;       Child Loop BB2_1298 Depth 3
                                        ;       Child Loop BB2_1305 Depth 3
	;; [unrolled: 1-line block ×11, first 2 shown]
                                        ;     Child Loop BB2_1401 Depth 2
                                        ;     Child Loop BB2_1486 Depth 2
	;; [unrolled: 1-line block ×6, first 2 shown]
                                        ;       Child Loop BB2_1409 Depth 3
                                        ;       Child Loop BB2_1416 Depth 3
	;; [unrolled: 1-line block ×11, first 2 shown]
                                        ;     Child Loop BB2_1513 Depth 2
                                        ;     Child Loop BB2_1521 Depth 2
	;; [unrolled: 1-line block ×4, first 2 shown]
	v_mov_b32_e32 v0, s19
	v_readfirstlane_b32 s2, v46
	v_mov_b64_e32 v[16:17], 0
	global_load_b32 v0, v0, s[12:13] scale_offset
	v_cmp_eq_u32_e64 s2, s2, v46
	s_wait_loadcnt 0x0
	v_readfirstlane_b32 s33, v0
	s_wait_xcnt 0x0
	s_and_saveexec_b32 s3, s2
	s_cbranch_execz .LBB2_1272
; %bb.1267:                             ;   in Loop: Header=BB2_1266 Depth=1
	global_load_b64 v[14:15], v1, s[20:21] offset:24 scope:SCOPE_SYS
	s_wait_loadcnt 0x0
	global_inv scope:SCOPE_SYS
	s_clause 0x1
	global_load_b64 v[12:13], v1, s[20:21] offset:40
	global_load_b64 v[16:17], v1, s[20:21]
	s_mov_b32 s8, exec_lo
	s_wait_loadcnt 0x1
	v_and_b32_e32 v12, v12, v14
	v_and_b32_e32 v13, v13, v15
	s_delay_alu instid0(VALU_DEP_1) | instskip(SKIP_1) | instid1(VALU_DEP_1)
	v_mul_u64_e32 v[12:13], 24, v[12:13]
	s_wait_loadcnt 0x0
	v_add_nc_u64_e32 v[12:13], v[16:17], v[12:13]
	global_load_b64 v[12:13], v[12:13], off scope:SCOPE_SYS
	s_wait_xcnt 0x0
	s_wait_loadcnt 0x0
	global_atomic_cmpswap_b64 v[16:17], v1, v[12:15], s[20:21] offset:24 th:TH_ATOMIC_RETURN scope:SCOPE_SYS
	s_wait_loadcnt 0x0
	global_inv scope:SCOPE_SYS
	s_wait_xcnt 0x0
	v_cmpx_ne_u64_e64 v[16:17], v[14:15]
	s_cbranch_execz .LBB2_1271
; %bb.1268:                             ;   in Loop: Header=BB2_1266 Depth=1
	s_mov_b32 s9, 0
.LBB2_1269:                             ;   Parent Loop BB2_1266 Depth=1
                                        ; =>  This Inner Loop Header: Depth=2
	s_sleep 1
	s_clause 0x1
	global_load_b64 v[12:13], v1, s[20:21] offset:40
	global_load_b64 v[18:19], v1, s[20:21]
	v_mov_b64_e32 v[14:15], v[16:17]
	s_wait_loadcnt 0x1
	s_delay_alu instid0(VALU_DEP_1) | instskip(SKIP_1) | instid1(VALU_DEP_1)
	v_and_b32_e32 v0, v12, v14
	s_wait_loadcnt 0x0
	v_mad_nc_u64_u32 v[16:17], v0, 24, v[18:19]
	s_delay_alu instid0(VALU_DEP_3) | instskip(NEXT) | instid1(VALU_DEP_1)
	v_and_b32_e32 v0, v13, v15
	v_mad_u32 v17, v0, 24, v17
	global_load_b64 v[12:13], v[16:17], off scope:SCOPE_SYS
	s_wait_xcnt 0x0
	s_wait_loadcnt 0x0
	global_atomic_cmpswap_b64 v[16:17], v1, v[12:15], s[20:21] offset:24 th:TH_ATOMIC_RETURN scope:SCOPE_SYS
	s_wait_loadcnt 0x0
	global_inv scope:SCOPE_SYS
	v_cmp_eq_u64_e32 vcc_lo, v[16:17], v[14:15]
	s_or_b32 s9, vcc_lo, s9
	s_wait_xcnt 0x0
	s_and_not1_b32 exec_lo, exec_lo, s9
	s_cbranch_execnz .LBB2_1269
; %bb.1270:                             ;   in Loop: Header=BB2_1266 Depth=1
	s_or_b32 exec_lo, exec_lo, s9
.LBB2_1271:                             ;   in Loop: Header=BB2_1266 Depth=1
	s_delay_alu instid0(SALU_CYCLE_1)
	s_or_b32 exec_lo, exec_lo, s8
.LBB2_1272:                             ;   in Loop: Header=BB2_1266 Depth=1
	s_delay_alu instid0(SALU_CYCLE_1)
	s_or_b32 exec_lo, exec_lo, s3
	s_clause 0x1
	global_load_b64 v[18:19], v1, s[20:21] offset:40
	global_load_b128 v[12:15], v1, s[20:21]
	v_readfirstlane_b32 s8, v16
	v_readfirstlane_b32 s9, v17
	s_mov_b32 s3, exec_lo
	s_wait_loadcnt 0x1
	v_and_b32_e32 v18, s8, v18
	v_and_b32_e32 v19, s9, v19
	s_delay_alu instid0(VALU_DEP_1) | instskip(SKIP_1) | instid1(VALU_DEP_1)
	v_mul_u64_e32 v[16:17], 24, v[18:19]
	s_wait_loadcnt 0x0
	v_add_nc_u64_e32 v[16:17], v[12:13], v[16:17]
	s_wait_xcnt 0x0
	s_and_saveexec_b32 s10, s2
	s_cbranch_execz .LBB2_1274
; %bb.1273:                             ;   in Loop: Header=BB2_1266 Depth=1
	v_mov_b32_e32 v0, s3
	global_store_b128 v[16:17], v[0:3], off offset:8
.LBB2_1274:                             ;   in Loop: Header=BB2_1266 Depth=1
	s_wait_xcnt 0x0
	s_or_b32 exec_lo, exec_lo, s10
	v_lshlrev_b64_e32 v[18:19], 12, v[18:19]
	s_delay_alu instid0(VALU_DEP_1) | instskip(NEXT) | instid1(VALU_DEP_1)
	v_add_nc_u64_e32 v[18:19], v[14:15], v[18:19]
	v_readfirstlane_b32 s10, v18
	s_delay_alu instid0(VALU_DEP_2)
	v_readfirstlane_b32 s11, v19
	s_clause 0x3
	global_store_b128 v38, v[4:7], s[10:11]
	global_store_b128 v38, v[8:11], s[10:11] offset:16
	global_store_b128 v38, v[8:11], s[10:11] offset:32
	;; [unrolled: 1-line block ×3, first 2 shown]
	s_wait_xcnt 0x0
	s_and_saveexec_b32 s3, s2
	s_cbranch_execz .LBB2_1282
; %bb.1275:                             ;   in Loop: Header=BB2_1266 Depth=1
	s_clause 0x1
	global_load_b64 v[24:25], v1, s[20:21] offset:32 scope:SCOPE_SYS
	global_load_b64 v[14:15], v1, s[20:21] offset:40
	s_mov_b32 s10, exec_lo
	v_dual_mov_b32 v22, s8 :: v_dual_mov_b32 v23, s9
	s_wait_loadcnt 0x0
	v_and_b32_e32 v15, s9, v15
	v_and_b32_e32 v14, s8, v14
	s_delay_alu instid0(VALU_DEP_1) | instskip(NEXT) | instid1(VALU_DEP_1)
	v_mul_u64_e32 v[14:15], 24, v[14:15]
	v_add_nc_u64_e32 v[20:21], v[12:13], v[14:15]
	global_store_b64 v[20:21], v[24:25], off
	global_wb scope:SCOPE_SYS
	s_wait_storecnt 0x0
	s_wait_xcnt 0x0
	global_atomic_cmpswap_b64 v[14:15], v1, v[22:25], s[20:21] offset:32 th:TH_ATOMIC_RETURN scope:SCOPE_SYS
	s_wait_loadcnt 0x0
	v_cmpx_ne_u64_e64 v[14:15], v[24:25]
	s_cbranch_execz .LBB2_1278
; %bb.1276:                             ;   in Loop: Header=BB2_1266 Depth=1
	s_mov_b32 s11, 0
.LBB2_1277:                             ;   Parent Loop BB2_1266 Depth=1
                                        ; =>  This Inner Loop Header: Depth=2
	v_dual_mov_b32 v12, s8 :: v_dual_mov_b32 v13, s9
	s_sleep 1
	global_store_b64 v[20:21], v[14:15], off
	global_wb scope:SCOPE_SYS
	s_wait_storecnt 0x0
	s_wait_xcnt 0x0
	global_atomic_cmpswap_b64 v[12:13], v1, v[12:15], s[20:21] offset:32 th:TH_ATOMIC_RETURN scope:SCOPE_SYS
	s_wait_loadcnt 0x0
	v_cmp_eq_u64_e32 vcc_lo, v[12:13], v[14:15]
	v_mov_b64_e32 v[14:15], v[12:13]
	s_or_b32 s11, vcc_lo, s11
	s_delay_alu instid0(SALU_CYCLE_1)
	s_and_not1_b32 exec_lo, exec_lo, s11
	s_cbranch_execnz .LBB2_1277
.LBB2_1278:                             ;   in Loop: Header=BB2_1266 Depth=1
	s_or_b32 exec_lo, exec_lo, s10
	global_load_b64 v[12:13], v1, s[20:21] offset:16
	s_mov_b32 s11, exec_lo
	s_mov_b32 s10, exec_lo
	v_mbcnt_lo_u32_b32 v0, s11, 0
	s_wait_xcnt 0x0
	s_delay_alu instid0(VALU_DEP_1)
	v_cmpx_eq_u32_e32 0, v0
	s_cbranch_execz .LBB2_1280
; %bb.1279:                             ;   in Loop: Header=BB2_1266 Depth=1
	s_bcnt1_i32_b32 s11, s11
	s_delay_alu instid0(SALU_CYCLE_1)
	v_mov_b32_e32 v0, s11
	global_wb scope:SCOPE_SYS
	s_wait_loadcnt 0x0
	s_wait_storecnt 0x0
	global_atomic_add_u64 v[12:13], v[0:1], off offset:8 scope:SCOPE_SYS
.LBB2_1280:                             ;   in Loop: Header=BB2_1266 Depth=1
	s_wait_xcnt 0x0
	s_or_b32 exec_lo, exec_lo, s10
	s_wait_loadcnt 0x0
	global_load_b64 v[14:15], v[12:13], off offset:16
	s_wait_loadcnt 0x0
	v_cmp_eq_u64_e32 vcc_lo, 0, v[14:15]
	s_cbranch_vccnz .LBB2_1282
; %bb.1281:                             ;   in Loop: Header=BB2_1266 Depth=1
	global_load_b32 v0, v[12:13], off offset:24
	s_wait_loadcnt 0x0
	v_readfirstlane_b32 s10, v0
	global_wb scope:SCOPE_SYS
	s_wait_storecnt 0x0
	s_wait_xcnt 0x0
	global_store_b64 v[14:15], v[0:1], off scope:SCOPE_SYS
	s_and_b32 m0, s10, 0xffffff
	s_sendmsg sendmsg(MSG_INTERRUPT)
.LBB2_1282:                             ;   in Loop: Header=BB2_1266 Depth=1
	s_wait_xcnt 0x0
	s_or_b32 exec_lo, exec_lo, s3
	v_add_nc_u64_e32 v[12:13], v[18:19], v[34:35]
	s_branch .LBB2_1286
.LBB2_1283:                             ;   in Loop: Header=BB2_1286 Depth=2
	s_wait_xcnt 0x0
	s_or_b32 exec_lo, exec_lo, s3
	s_delay_alu instid0(VALU_DEP_1)
	v_readfirstlane_b32 s3, v0
	s_cmp_eq_u32 s3, 0
	s_cbranch_scc1 .LBB2_1285
; %bb.1284:                             ;   in Loop: Header=BB2_1286 Depth=2
	s_sleep 1
	s_cbranch_execnz .LBB2_1286
	s_branch .LBB2_1288
.LBB2_1285:                             ;   in Loop: Header=BB2_1266 Depth=1
	s_branch .LBB2_1288
.LBB2_1286:                             ;   Parent Loop BB2_1266 Depth=1
                                        ; =>  This Inner Loop Header: Depth=2
	v_mov_b32_e32 v0, 1
	s_and_saveexec_b32 s3, s2
	s_cbranch_execz .LBB2_1283
; %bb.1287:                             ;   in Loop: Header=BB2_1286 Depth=2
	global_load_b32 v0, v[16:17], off offset:20 scope:SCOPE_SYS
	s_wait_loadcnt 0x0
	global_inv scope:SCOPE_SYS
	v_and_b32_e32 v0, 1, v0
	s_branch .LBB2_1283
.LBB2_1288:                             ;   in Loop: Header=BB2_1266 Depth=1
	global_load_b64 v[16:17], v[12:13], off
	s_wait_xcnt 0x0
	s_and_saveexec_b32 s10, s2
	s_cbranch_execz .LBB2_1292
; %bb.1289:                             ;   in Loop: Header=BB2_1266 Depth=1
	s_clause 0x2
	global_load_b64 v[12:13], v1, s[20:21] offset:40
	global_load_b64 v[22:23], v1, s[20:21] offset:24 scope:SCOPE_SYS
	global_load_b64 v[14:15], v1, s[20:21]
	s_wait_loadcnt 0x2
	v_readfirstlane_b32 s26, v12
	v_readfirstlane_b32 s27, v13
	s_add_nc_u64 s[2:3], s[26:27], 1
	s_delay_alu instid0(SALU_CYCLE_1) | instskip(NEXT) | instid1(SALU_CYCLE_1)
	s_add_nc_u64 s[8:9], s[2:3], s[8:9]
	s_cmp_eq_u64 s[8:9], 0
	s_cselect_b32 s3, s3, s9
	s_cselect_b32 s2, s2, s8
	s_delay_alu instid0(SALU_CYCLE_1) | instskip(SKIP_1) | instid1(SALU_CYCLE_1)
	v_dual_mov_b32 v21, s3 :: v_dual_mov_b32 v20, s2
	s_and_b64 s[8:9], s[2:3], s[26:27]
	s_mul_u64 s[8:9], s[8:9], 24
	s_wait_loadcnt 0x0
	v_add_nc_u64_e32 v[18:19], s[8:9], v[14:15]
	global_store_b64 v[18:19], v[22:23], off
	global_wb scope:SCOPE_SYS
	s_wait_storecnt 0x0
	s_wait_xcnt 0x0
	global_atomic_cmpswap_b64 v[14:15], v1, v[20:23], s[20:21] offset:24 th:TH_ATOMIC_RETURN scope:SCOPE_SYS
	s_wait_loadcnt 0x0
	v_cmp_ne_u64_e32 vcc_lo, v[14:15], v[22:23]
	s_and_b32 exec_lo, exec_lo, vcc_lo
	s_cbranch_execz .LBB2_1292
; %bb.1290:                             ;   in Loop: Header=BB2_1266 Depth=1
	s_mov_b32 s8, 0
.LBB2_1291:                             ;   Parent Loop BB2_1266 Depth=1
                                        ; =>  This Inner Loop Header: Depth=2
	v_dual_mov_b32 v12, s2 :: v_dual_mov_b32 v13, s3
	s_sleep 1
	global_store_b64 v[18:19], v[14:15], off
	global_wb scope:SCOPE_SYS
	s_wait_storecnt 0x0
	s_wait_xcnt 0x0
	global_atomic_cmpswap_b64 v[12:13], v1, v[12:15], s[20:21] offset:24 th:TH_ATOMIC_RETURN scope:SCOPE_SYS
	s_wait_loadcnt 0x0
	v_cmp_eq_u64_e32 vcc_lo, v[12:13], v[14:15]
	v_mov_b64_e32 v[14:15], v[12:13]
	s_or_b32 s8, vcc_lo, s8
	s_delay_alu instid0(SALU_CYCLE_1)
	s_and_not1_b32 exec_lo, exec_lo, s8
	s_cbranch_execnz .LBB2_1291
.LBB2_1292:                             ;   in Loop: Header=BB2_1266 Depth=1
	s_or_b32 exec_lo, exec_lo, s10
	s_delay_alu instid0(SALU_CYCLE_1)
	s_and_b32 vcc_lo, exec_lo, s17
	s_cbranch_vccz .LBB2_1371
; %bb.1293:                             ;   in Loop: Header=BB2_1266 Depth=1
	s_wait_loadcnt 0x0
	v_dual_mov_b32 v13, v17 :: v_dual_bitop2_b32 v36, 2, v16 bitop3:0x40
	v_and_b32_e32 v12, -3, v16
	s_mov_b64 s[8:9], 6
	s_mov_b64 s[10:11], s[14:15]
	s_branch .LBB2_1295
.LBB2_1294:                             ;   in Loop: Header=BB2_1295 Depth=2
	s_or_b32 exec_lo, exec_lo, s30
	s_sub_nc_u64 s[8:9], s[8:9], s[26:27]
	s_add_nc_u64 s[10:11], s[10:11], s[26:27]
	s_cmp_lg_u64 s[8:9], 0
	s_cbranch_scc0 .LBB2_1370
.LBB2_1295:                             ;   Parent Loop BB2_1266 Depth=1
                                        ; =>  This Loop Header: Depth=2
                                        ;       Child Loop BB2_1298 Depth 3
                                        ;       Child Loop BB2_1305 Depth 3
	;; [unrolled: 1-line block ×11, first 2 shown]
	v_min_u64 v[14:15], s[8:9], 56
	v_cmp_gt_u64_e64 s2, s[8:9], 7
	s_and_b32 vcc_lo, exec_lo, s2
	v_readfirstlane_b32 s26, v14
	v_readfirstlane_b32 s27, v15
	s_cbranch_vccnz .LBB2_1300
; %bb.1296:                             ;   in Loop: Header=BB2_1295 Depth=2
	v_mov_b64_e32 v[14:15], 0
	s_cmp_eq_u64 s[8:9], 0
	s_cbranch_scc1 .LBB2_1299
; %bb.1297:                             ;   in Loop: Header=BB2_1295 Depth=2
	s_mov_b64 s[2:3], 0
	s_mov_b64 s[28:29], 0
.LBB2_1298:                             ;   Parent Loop BB2_1266 Depth=1
                                        ;     Parent Loop BB2_1295 Depth=2
                                        ; =>    This Inner Loop Header: Depth=3
	s_wait_xcnt 0x0
	s_add_nc_u64 s[30:31], s[10:11], s[28:29]
	s_add_nc_u64 s[28:29], s[28:29], 1
	global_load_u8 v0, v1, s[30:31]
	s_cmp_lg_u32 s26, s28
	s_wait_loadcnt 0x0
	v_and_b32_e32 v0, 0xffff, v0
	s_delay_alu instid0(VALU_DEP_1) | instskip(SKIP_1) | instid1(VALU_DEP_1)
	v_lshlrev_b64_e32 v[18:19], s2, v[0:1]
	s_add_nc_u64 s[2:3], s[2:3], 8
	v_or_b32_e32 v14, v18, v14
	s_delay_alu instid0(VALU_DEP_2)
	v_or_b32_e32 v15, v19, v15
	s_cbranch_scc1 .LBB2_1298
.LBB2_1299:                             ;   in Loop: Header=BB2_1295 Depth=2
	s_mov_b64 s[2:3], s[10:11]
	s_mov_b32 s34, 0
	s_cbranch_execz .LBB2_1301
	s_branch .LBB2_1302
.LBB2_1300:                             ;   in Loop: Header=BB2_1295 Depth=2
	s_add_nc_u64 s[2:3], s[10:11], 8
	s_mov_b32 s34, 0
.LBB2_1301:                             ;   in Loop: Header=BB2_1295 Depth=2
	global_load_b64 v[14:15], v1, s[10:11]
	s_add_co_i32 s34, s26, -8
.LBB2_1302:                             ;   in Loop: Header=BB2_1295 Depth=2
	s_delay_alu instid0(SALU_CYCLE_1)
	s_cmp_gt_u32 s34, 7
	s_cbranch_scc1 .LBB2_1307
; %bb.1303:                             ;   in Loop: Header=BB2_1295 Depth=2
	v_mov_b64_e32 v[18:19], 0
	s_cmp_eq_u32 s34, 0
	s_cbranch_scc1 .LBB2_1306
; %bb.1304:                             ;   in Loop: Header=BB2_1295 Depth=2
	s_mov_b64 s[28:29], 0
	s_wait_xcnt 0x0
	s_mov_b64 s[30:31], 0
.LBB2_1305:                             ;   Parent Loop BB2_1266 Depth=1
                                        ;     Parent Loop BB2_1295 Depth=2
                                        ; =>    This Inner Loop Header: Depth=3
	s_wait_xcnt 0x0
	s_add_nc_u64 s[36:37], s[2:3], s[30:31]
	s_add_nc_u64 s[30:31], s[30:31], 1
	global_load_u8 v0, v1, s[36:37]
	s_cmp_lg_u32 s34, s30
	s_wait_loadcnt 0x0
	v_and_b32_e32 v0, 0xffff, v0
	s_delay_alu instid0(VALU_DEP_1) | instskip(SKIP_1) | instid1(VALU_DEP_1)
	v_lshlrev_b64_e32 v[20:21], s28, v[0:1]
	s_add_nc_u64 s[28:29], s[28:29], 8
	v_or_b32_e32 v18, v20, v18
	s_delay_alu instid0(VALU_DEP_2)
	v_or_b32_e32 v19, v21, v19
	s_cbranch_scc1 .LBB2_1305
.LBB2_1306:                             ;   in Loop: Header=BB2_1295 Depth=2
	s_wait_xcnt 0x0
	s_mov_b64 s[28:29], s[2:3]
	s_mov_b32 s35, 0
	s_cbranch_execz .LBB2_1308
	s_branch .LBB2_1309
.LBB2_1307:                             ;   in Loop: Header=BB2_1295 Depth=2
	s_add_nc_u64 s[28:29], s[2:3], 8
	s_wait_xcnt 0x0
                                        ; implicit-def: $vgpr18_vgpr19
	s_mov_b32 s35, 0
.LBB2_1308:                             ;   in Loop: Header=BB2_1295 Depth=2
	global_load_b64 v[18:19], v1, s[2:3]
	s_add_co_i32 s35, s34, -8
.LBB2_1309:                             ;   in Loop: Header=BB2_1295 Depth=2
	s_delay_alu instid0(SALU_CYCLE_1)
	s_cmp_gt_u32 s35, 7
	s_cbranch_scc1 .LBB2_1314
; %bb.1310:                             ;   in Loop: Header=BB2_1295 Depth=2
	v_mov_b64_e32 v[20:21], 0
	s_cmp_eq_u32 s35, 0
	s_cbranch_scc1 .LBB2_1313
; %bb.1311:                             ;   in Loop: Header=BB2_1295 Depth=2
	s_wait_xcnt 0x0
	s_mov_b64 s[2:3], 0
	s_mov_b64 s[30:31], 0
.LBB2_1312:                             ;   Parent Loop BB2_1266 Depth=1
                                        ;     Parent Loop BB2_1295 Depth=2
                                        ; =>    This Inner Loop Header: Depth=3
	s_wait_xcnt 0x0
	s_add_nc_u64 s[36:37], s[28:29], s[30:31]
	s_add_nc_u64 s[30:31], s[30:31], 1
	global_load_u8 v0, v1, s[36:37]
	s_cmp_lg_u32 s35, s30
	s_wait_loadcnt 0x0
	v_and_b32_e32 v0, 0xffff, v0
	s_delay_alu instid0(VALU_DEP_1) | instskip(SKIP_1) | instid1(VALU_DEP_1)
	v_lshlrev_b64_e32 v[22:23], s2, v[0:1]
	s_add_nc_u64 s[2:3], s[2:3], 8
	v_or_b32_e32 v20, v22, v20
	s_delay_alu instid0(VALU_DEP_2)
	v_or_b32_e32 v21, v23, v21
	s_cbranch_scc1 .LBB2_1312
.LBB2_1313:                             ;   in Loop: Header=BB2_1295 Depth=2
	s_wait_xcnt 0x0
	s_mov_b64 s[2:3], s[28:29]
	s_mov_b32 s34, 0
	s_cbranch_execz .LBB2_1315
	s_branch .LBB2_1316
.LBB2_1314:                             ;   in Loop: Header=BB2_1295 Depth=2
	s_wait_xcnt 0x0
	s_add_nc_u64 s[2:3], s[28:29], 8
	s_mov_b32 s34, 0
.LBB2_1315:                             ;   in Loop: Header=BB2_1295 Depth=2
	global_load_b64 v[20:21], v1, s[28:29]
	s_add_co_i32 s34, s35, -8
.LBB2_1316:                             ;   in Loop: Header=BB2_1295 Depth=2
	s_delay_alu instid0(SALU_CYCLE_1)
	s_cmp_gt_u32 s34, 7
	s_cbranch_scc1 .LBB2_1321
; %bb.1317:                             ;   in Loop: Header=BB2_1295 Depth=2
	v_mov_b64_e32 v[22:23], 0
	s_cmp_eq_u32 s34, 0
	s_cbranch_scc1 .LBB2_1320
; %bb.1318:                             ;   in Loop: Header=BB2_1295 Depth=2
	s_wait_xcnt 0x0
	s_mov_b64 s[28:29], 0
	s_mov_b64 s[30:31], 0
.LBB2_1319:                             ;   Parent Loop BB2_1266 Depth=1
                                        ;     Parent Loop BB2_1295 Depth=2
                                        ; =>    This Inner Loop Header: Depth=3
	s_wait_xcnt 0x0
	s_add_nc_u64 s[36:37], s[2:3], s[30:31]
	s_add_nc_u64 s[30:31], s[30:31], 1
	global_load_u8 v0, v1, s[36:37]
	s_cmp_lg_u32 s34, s30
	s_wait_loadcnt 0x0
	v_and_b32_e32 v0, 0xffff, v0
	s_delay_alu instid0(VALU_DEP_1) | instskip(SKIP_1) | instid1(VALU_DEP_1)
	v_lshlrev_b64_e32 v[24:25], s28, v[0:1]
	s_add_nc_u64 s[28:29], s[28:29], 8
	v_or_b32_e32 v22, v24, v22
	s_delay_alu instid0(VALU_DEP_2)
	v_or_b32_e32 v23, v25, v23
	s_cbranch_scc1 .LBB2_1319
.LBB2_1320:                             ;   in Loop: Header=BB2_1295 Depth=2
	s_wait_xcnt 0x0
	s_mov_b64 s[28:29], s[2:3]
	s_mov_b32 s35, 0
	s_cbranch_execz .LBB2_1322
	s_branch .LBB2_1323
.LBB2_1321:                             ;   in Loop: Header=BB2_1295 Depth=2
	s_wait_xcnt 0x0
	s_add_nc_u64 s[28:29], s[2:3], 8
                                        ; implicit-def: $vgpr22_vgpr23
	s_mov_b32 s35, 0
.LBB2_1322:                             ;   in Loop: Header=BB2_1295 Depth=2
	global_load_b64 v[22:23], v1, s[2:3]
	s_add_co_i32 s35, s34, -8
.LBB2_1323:                             ;   in Loop: Header=BB2_1295 Depth=2
	s_delay_alu instid0(SALU_CYCLE_1)
	s_cmp_gt_u32 s35, 7
	s_cbranch_scc1 .LBB2_1328
; %bb.1324:                             ;   in Loop: Header=BB2_1295 Depth=2
	v_mov_b64_e32 v[24:25], 0
	s_cmp_eq_u32 s35, 0
	s_cbranch_scc1 .LBB2_1327
; %bb.1325:                             ;   in Loop: Header=BB2_1295 Depth=2
	s_wait_xcnt 0x0
	s_mov_b64 s[2:3], 0
	s_mov_b64 s[30:31], 0
.LBB2_1326:                             ;   Parent Loop BB2_1266 Depth=1
                                        ;     Parent Loop BB2_1295 Depth=2
                                        ; =>    This Inner Loop Header: Depth=3
	s_wait_xcnt 0x0
	s_add_nc_u64 s[36:37], s[28:29], s[30:31]
	s_add_nc_u64 s[30:31], s[30:31], 1
	global_load_u8 v0, v1, s[36:37]
	s_cmp_lg_u32 s35, s30
	s_wait_loadcnt 0x0
	v_and_b32_e32 v0, 0xffff, v0
	s_delay_alu instid0(VALU_DEP_1) | instskip(SKIP_1) | instid1(VALU_DEP_1)
	v_lshlrev_b64_e32 v[26:27], s2, v[0:1]
	s_add_nc_u64 s[2:3], s[2:3], 8
	v_or_b32_e32 v24, v26, v24
	s_delay_alu instid0(VALU_DEP_2)
	v_or_b32_e32 v25, v27, v25
	s_cbranch_scc1 .LBB2_1326
.LBB2_1327:                             ;   in Loop: Header=BB2_1295 Depth=2
	s_wait_xcnt 0x0
	s_mov_b64 s[2:3], s[28:29]
	s_mov_b32 s34, 0
	s_cbranch_execz .LBB2_1329
	s_branch .LBB2_1330
.LBB2_1328:                             ;   in Loop: Header=BB2_1295 Depth=2
	s_wait_xcnt 0x0
	s_add_nc_u64 s[2:3], s[28:29], 8
	s_mov_b32 s34, 0
.LBB2_1329:                             ;   in Loop: Header=BB2_1295 Depth=2
	global_load_b64 v[24:25], v1, s[28:29]
	s_add_co_i32 s34, s35, -8
.LBB2_1330:                             ;   in Loop: Header=BB2_1295 Depth=2
	s_delay_alu instid0(SALU_CYCLE_1)
	s_cmp_gt_u32 s34, 7
	s_cbranch_scc1 .LBB2_1335
; %bb.1331:                             ;   in Loop: Header=BB2_1295 Depth=2
	v_mov_b64_e32 v[26:27], 0
	s_cmp_eq_u32 s34, 0
	s_cbranch_scc1 .LBB2_1334
; %bb.1332:                             ;   in Loop: Header=BB2_1295 Depth=2
	s_wait_xcnt 0x0
	s_mov_b64 s[28:29], 0
	s_mov_b64 s[30:31], 0
.LBB2_1333:                             ;   Parent Loop BB2_1266 Depth=1
                                        ;     Parent Loop BB2_1295 Depth=2
                                        ; =>    This Inner Loop Header: Depth=3
	s_wait_xcnt 0x0
	s_add_nc_u64 s[36:37], s[2:3], s[30:31]
	s_add_nc_u64 s[30:31], s[30:31], 1
	global_load_u8 v0, v1, s[36:37]
	s_cmp_lg_u32 s34, s30
	s_wait_loadcnt 0x0
	v_and_b32_e32 v0, 0xffff, v0
	s_delay_alu instid0(VALU_DEP_1) | instskip(SKIP_1) | instid1(VALU_DEP_1)
	v_lshlrev_b64_e32 v[28:29], s28, v[0:1]
	s_add_nc_u64 s[28:29], s[28:29], 8
	v_or_b32_e32 v26, v28, v26
	s_delay_alu instid0(VALU_DEP_2)
	v_or_b32_e32 v27, v29, v27
	s_cbranch_scc1 .LBB2_1333
.LBB2_1334:                             ;   in Loop: Header=BB2_1295 Depth=2
	s_wait_xcnt 0x0
	s_mov_b64 s[28:29], s[2:3]
	s_mov_b32 s35, 0
	s_cbranch_execz .LBB2_1336
	s_branch .LBB2_1337
.LBB2_1335:                             ;   in Loop: Header=BB2_1295 Depth=2
	s_wait_xcnt 0x0
	s_add_nc_u64 s[28:29], s[2:3], 8
                                        ; implicit-def: $vgpr26_vgpr27
	s_mov_b32 s35, 0
.LBB2_1336:                             ;   in Loop: Header=BB2_1295 Depth=2
	global_load_b64 v[26:27], v1, s[2:3]
	s_add_co_i32 s35, s34, -8
.LBB2_1337:                             ;   in Loop: Header=BB2_1295 Depth=2
	s_delay_alu instid0(SALU_CYCLE_1)
	s_cmp_gt_u32 s35, 7
	s_cbranch_scc1 .LBB2_1342
; %bb.1338:                             ;   in Loop: Header=BB2_1295 Depth=2
	v_mov_b64_e32 v[28:29], 0
	s_cmp_eq_u32 s35, 0
	s_cbranch_scc1 .LBB2_1341
; %bb.1339:                             ;   in Loop: Header=BB2_1295 Depth=2
	s_wait_xcnt 0x0
	s_mov_b64 s[2:3], 0
	s_mov_b64 s[30:31], s[28:29]
.LBB2_1340:                             ;   Parent Loop BB2_1266 Depth=1
                                        ;     Parent Loop BB2_1295 Depth=2
                                        ; =>    This Inner Loop Header: Depth=3
	global_load_u8 v0, v1, s[30:31]
	s_add_co_i32 s35, s35, -1
	s_wait_xcnt 0x0
	s_add_nc_u64 s[30:31], s[30:31], 1
	s_cmp_lg_u32 s35, 0
	s_wait_loadcnt 0x0
	v_and_b32_e32 v0, 0xffff, v0
	s_delay_alu instid0(VALU_DEP_1) | instskip(SKIP_1) | instid1(VALU_DEP_1)
	v_lshlrev_b64_e32 v[30:31], s2, v[0:1]
	s_add_nc_u64 s[2:3], s[2:3], 8
	v_or_b32_e32 v28, v30, v28
	s_delay_alu instid0(VALU_DEP_2)
	v_or_b32_e32 v29, v31, v29
	s_cbranch_scc1 .LBB2_1340
.LBB2_1341:                             ;   in Loop: Header=BB2_1295 Depth=2
	s_wait_xcnt 0x0
	s_cbranch_execz .LBB2_1343
	s_branch .LBB2_1344
.LBB2_1342:                             ;   in Loop: Header=BB2_1295 Depth=2
	s_wait_xcnt 0x0
.LBB2_1343:                             ;   in Loop: Header=BB2_1295 Depth=2
	global_load_b64 v[28:29], v1, s[28:29]
.LBB2_1344:                             ;   in Loop: Header=BB2_1295 Depth=2
	v_readfirstlane_b32 s2, v46
	v_mov_b64_e32 v[40:41], 0
	s_delay_alu instid0(VALU_DEP_2)
	v_cmp_eq_u32_e64 s2, s2, v46
	s_wait_xcnt 0x0
	s_and_saveexec_b32 s3, s2
	s_cbranch_execz .LBB2_1350
; %bb.1345:                             ;   in Loop: Header=BB2_1295 Depth=2
	global_load_b64 v[32:33], v1, s[20:21] offset:24 scope:SCOPE_SYS
	s_wait_loadcnt 0x0
	global_inv scope:SCOPE_SYS
	s_clause 0x1
	global_load_b64 v[30:31], v1, s[20:21] offset:40
	global_load_b64 v[40:41], v1, s[20:21]
	s_mov_b32 s28, exec_lo
	s_wait_loadcnt 0x1
	v_and_b32_e32 v30, v30, v32
	v_and_b32_e32 v31, v31, v33
	s_delay_alu instid0(VALU_DEP_1) | instskip(SKIP_1) | instid1(VALU_DEP_1)
	v_mul_u64_e32 v[30:31], 24, v[30:31]
	s_wait_loadcnt 0x0
	v_add_nc_u64_e32 v[30:31], v[40:41], v[30:31]
	global_load_b64 v[30:31], v[30:31], off scope:SCOPE_SYS
	s_wait_xcnt 0x0
	s_wait_loadcnt 0x0
	global_atomic_cmpswap_b64 v[40:41], v1, v[30:33], s[20:21] offset:24 th:TH_ATOMIC_RETURN scope:SCOPE_SYS
	s_wait_loadcnt 0x0
	global_inv scope:SCOPE_SYS
	s_wait_xcnt 0x0
	v_cmpx_ne_u64_e64 v[40:41], v[32:33]
	s_cbranch_execz .LBB2_1349
; %bb.1346:                             ;   in Loop: Header=BB2_1295 Depth=2
	s_mov_b32 s29, 0
.LBB2_1347:                             ;   Parent Loop BB2_1266 Depth=1
                                        ;     Parent Loop BB2_1295 Depth=2
                                        ; =>    This Inner Loop Header: Depth=3
	s_sleep 1
	s_clause 0x1
	global_load_b64 v[30:31], v1, s[20:21] offset:40
	global_load_b64 v[42:43], v1, s[20:21]
	v_mov_b64_e32 v[32:33], v[40:41]
	s_wait_loadcnt 0x1
	s_delay_alu instid0(VALU_DEP_1) | instskip(SKIP_1) | instid1(VALU_DEP_1)
	v_and_b32_e32 v0, v30, v32
	s_wait_loadcnt 0x0
	v_mad_nc_u64_u32 v[40:41], v0, 24, v[42:43]
	s_delay_alu instid0(VALU_DEP_3) | instskip(NEXT) | instid1(VALU_DEP_1)
	v_and_b32_e32 v0, v31, v33
	v_mad_u32 v41, v0, 24, v41
	global_load_b64 v[30:31], v[40:41], off scope:SCOPE_SYS
	s_wait_xcnt 0x0
	s_wait_loadcnt 0x0
	global_atomic_cmpswap_b64 v[40:41], v1, v[30:33], s[20:21] offset:24 th:TH_ATOMIC_RETURN scope:SCOPE_SYS
	s_wait_loadcnt 0x0
	global_inv scope:SCOPE_SYS
	v_cmp_eq_u64_e32 vcc_lo, v[40:41], v[32:33]
	s_or_b32 s29, vcc_lo, s29
	s_wait_xcnt 0x0
	s_and_not1_b32 exec_lo, exec_lo, s29
	s_cbranch_execnz .LBB2_1347
; %bb.1348:                             ;   in Loop: Header=BB2_1295 Depth=2
	s_or_b32 exec_lo, exec_lo, s29
.LBB2_1349:                             ;   in Loop: Header=BB2_1295 Depth=2
	s_delay_alu instid0(SALU_CYCLE_1)
	s_or_b32 exec_lo, exec_lo, s28
.LBB2_1350:                             ;   in Loop: Header=BB2_1295 Depth=2
	s_delay_alu instid0(SALU_CYCLE_1)
	s_or_b32 exec_lo, exec_lo, s3
	s_clause 0x1
	global_load_b64 v[42:43], v1, s[20:21] offset:40
	global_load_b128 v[30:33], v1, s[20:21]
	v_readfirstlane_b32 s28, v40
	v_readfirstlane_b32 s29, v41
	s_mov_b32 s3, exec_lo
	s_wait_loadcnt 0x1
	v_and_b32_e32 v42, s28, v42
	v_and_b32_e32 v43, s29, v43
	s_delay_alu instid0(VALU_DEP_1) | instskip(SKIP_1) | instid1(VALU_DEP_1)
	v_mul_u64_e32 v[40:41], 24, v[42:43]
	s_wait_loadcnt 0x0
	v_add_nc_u64_e32 v[40:41], v[30:31], v[40:41]
	s_wait_xcnt 0x0
	s_and_saveexec_b32 s30, s2
	s_cbranch_execz .LBB2_1352
; %bb.1351:                             ;   in Loop: Header=BB2_1295 Depth=2
	v_mov_b32_e32 v0, s3
	global_store_b128 v[40:41], v[0:3], off offset:8
.LBB2_1352:                             ;   in Loop: Header=BB2_1295 Depth=2
	s_wait_xcnt 0x0
	s_or_b32 exec_lo, exec_lo, s30
	v_cmp_lt_u64_e64 vcc_lo, s[8:9], 57
	v_lshlrev_b64_e32 v[42:43], 12, v[42:43]
	v_and_b32_e32 v12, 0xffffff1f, v12
	s_lshl_b32 s3, s26, 2
	s_delay_alu instid0(SALU_CYCLE_1) | instskip(SKIP_1) | instid1(VALU_DEP_3)
	s_add_co_i32 s3, s3, 28
	v_cndmask_b32_e32 v0, 0, v36, vcc_lo
	v_add_nc_u64_e32 v[32:33], v[32:33], v[42:43]
	s_delay_alu instid0(VALU_DEP_2) | instskip(NEXT) | instid1(VALU_DEP_2)
	v_or_b32_e32 v0, v12, v0
	v_readfirstlane_b32 s30, v32
	s_delay_alu instid0(VALU_DEP_3) | instskip(NEXT) | instid1(VALU_DEP_3)
	v_readfirstlane_b32 s31, v33
	v_and_or_b32 v12, 0x1e0, s3, v0
	s_clause 0x3
	global_store_b128 v38, v[12:15], s[30:31]
	global_store_b128 v38, v[18:21], s[30:31] offset:16
	global_store_b128 v38, v[22:25], s[30:31] offset:32
	global_store_b128 v38, v[26:29], s[30:31] offset:48
	s_wait_xcnt 0x0
	s_and_saveexec_b32 s3, s2
	s_cbranch_execz .LBB2_1360
; %bb.1353:                             ;   in Loop: Header=BB2_1295 Depth=2
	s_clause 0x1
	global_load_b64 v[22:23], v1, s[20:21] offset:32 scope:SCOPE_SYS
	global_load_b64 v[12:13], v1, s[20:21] offset:40
	s_mov_b32 s30, exec_lo
	v_dual_mov_b32 v20, s28 :: v_dual_mov_b32 v21, s29
	s_wait_loadcnt 0x0
	v_and_b32_e32 v13, s29, v13
	v_and_b32_e32 v12, s28, v12
	s_delay_alu instid0(VALU_DEP_1) | instskip(NEXT) | instid1(VALU_DEP_1)
	v_mul_u64_e32 v[12:13], 24, v[12:13]
	v_add_nc_u64_e32 v[18:19], v[30:31], v[12:13]
	global_store_b64 v[18:19], v[22:23], off
	global_wb scope:SCOPE_SYS
	s_wait_storecnt 0x0
	s_wait_xcnt 0x0
	global_atomic_cmpswap_b64 v[14:15], v1, v[20:23], s[20:21] offset:32 th:TH_ATOMIC_RETURN scope:SCOPE_SYS
	s_wait_loadcnt 0x0
	v_cmpx_ne_u64_e64 v[14:15], v[22:23]
	s_cbranch_execz .LBB2_1356
; %bb.1354:                             ;   in Loop: Header=BB2_1295 Depth=2
	s_mov_b32 s31, 0
.LBB2_1355:                             ;   Parent Loop BB2_1266 Depth=1
                                        ;     Parent Loop BB2_1295 Depth=2
                                        ; =>    This Inner Loop Header: Depth=3
	v_dual_mov_b32 v12, s28 :: v_dual_mov_b32 v13, s29
	s_sleep 1
	global_store_b64 v[18:19], v[14:15], off
	global_wb scope:SCOPE_SYS
	s_wait_storecnt 0x0
	s_wait_xcnt 0x0
	global_atomic_cmpswap_b64 v[12:13], v1, v[12:15], s[20:21] offset:32 th:TH_ATOMIC_RETURN scope:SCOPE_SYS
	s_wait_loadcnt 0x0
	v_cmp_eq_u64_e32 vcc_lo, v[12:13], v[14:15]
	v_mov_b64_e32 v[14:15], v[12:13]
	s_or_b32 s31, vcc_lo, s31
	s_delay_alu instid0(SALU_CYCLE_1)
	s_and_not1_b32 exec_lo, exec_lo, s31
	s_cbranch_execnz .LBB2_1355
.LBB2_1356:                             ;   in Loop: Header=BB2_1295 Depth=2
	s_or_b32 exec_lo, exec_lo, s30
	global_load_b64 v[12:13], v1, s[20:21] offset:16
	s_mov_b32 s31, exec_lo
	s_mov_b32 s30, exec_lo
	v_mbcnt_lo_u32_b32 v0, s31, 0
	s_wait_xcnt 0x0
	s_delay_alu instid0(VALU_DEP_1)
	v_cmpx_eq_u32_e32 0, v0
	s_cbranch_execz .LBB2_1358
; %bb.1357:                             ;   in Loop: Header=BB2_1295 Depth=2
	s_bcnt1_i32_b32 s31, s31
	s_delay_alu instid0(SALU_CYCLE_1)
	v_mov_b32_e32 v0, s31
	global_wb scope:SCOPE_SYS
	s_wait_loadcnt 0x0
	s_wait_storecnt 0x0
	global_atomic_add_u64 v[12:13], v[0:1], off offset:8 scope:SCOPE_SYS
.LBB2_1358:                             ;   in Loop: Header=BB2_1295 Depth=2
	s_wait_xcnt 0x0
	s_or_b32 exec_lo, exec_lo, s30
	s_wait_loadcnt 0x0
	global_load_b64 v[14:15], v[12:13], off offset:16
	s_wait_loadcnt 0x0
	v_cmp_eq_u64_e32 vcc_lo, 0, v[14:15]
	s_cbranch_vccnz .LBB2_1360
; %bb.1359:                             ;   in Loop: Header=BB2_1295 Depth=2
	global_load_b32 v0, v[12:13], off offset:24
	s_wait_loadcnt 0x0
	v_readfirstlane_b32 s30, v0
	global_wb scope:SCOPE_SYS
	s_wait_storecnt 0x0
	s_wait_xcnt 0x0
	global_store_b64 v[14:15], v[0:1], off scope:SCOPE_SYS
	s_and_b32 m0, s30, 0xffffff
	s_sendmsg sendmsg(MSG_INTERRUPT)
.LBB2_1360:                             ;   in Loop: Header=BB2_1295 Depth=2
	s_wait_xcnt 0x0
	s_or_b32 exec_lo, exec_lo, s3
	v_mov_b32_e32 v39, v1
	s_delay_alu instid0(VALU_DEP_1)
	v_add_nc_u64_e32 v[12:13], v[32:33], v[38:39]
	s_branch .LBB2_1364
.LBB2_1361:                             ;   in Loop: Header=BB2_1364 Depth=3
	s_wait_xcnt 0x0
	s_or_b32 exec_lo, exec_lo, s3
	s_delay_alu instid0(VALU_DEP_1)
	v_readfirstlane_b32 s3, v0
	s_cmp_eq_u32 s3, 0
	s_cbranch_scc1 .LBB2_1363
; %bb.1362:                             ;   in Loop: Header=BB2_1364 Depth=3
	s_sleep 1
	s_cbranch_execnz .LBB2_1364
	s_branch .LBB2_1366
.LBB2_1363:                             ;   in Loop: Header=BB2_1295 Depth=2
	s_branch .LBB2_1366
.LBB2_1364:                             ;   Parent Loop BB2_1266 Depth=1
                                        ;     Parent Loop BB2_1295 Depth=2
                                        ; =>    This Inner Loop Header: Depth=3
	v_mov_b32_e32 v0, 1
	s_and_saveexec_b32 s3, s2
	s_cbranch_execz .LBB2_1361
; %bb.1365:                             ;   in Loop: Header=BB2_1364 Depth=3
	global_load_b32 v0, v[40:41], off offset:20 scope:SCOPE_SYS
	s_wait_loadcnt 0x0
	global_inv scope:SCOPE_SYS
	v_and_b32_e32 v0, 1, v0
	s_branch .LBB2_1361
.LBB2_1366:                             ;   in Loop: Header=BB2_1295 Depth=2
	global_load_b64 v[12:13], v[12:13], off
	s_wait_xcnt 0x0
	s_and_saveexec_b32 s30, s2
	s_cbranch_execz .LBB2_1294
; %bb.1367:                             ;   in Loop: Header=BB2_1295 Depth=2
	s_clause 0x2
	global_load_b64 v[14:15], v1, s[20:21] offset:40
	global_load_b64 v[22:23], v1, s[20:21] offset:24 scope:SCOPE_SYS
	global_load_b64 v[18:19], v1, s[20:21]
	s_wait_loadcnt 0x2
	v_readfirstlane_b32 s34, v14
	v_readfirstlane_b32 s35, v15
	s_add_nc_u64 s[2:3], s[34:35], 1
	s_delay_alu instid0(SALU_CYCLE_1) | instskip(NEXT) | instid1(SALU_CYCLE_1)
	s_add_nc_u64 s[28:29], s[2:3], s[28:29]
	s_cmp_eq_u64 s[28:29], 0
	s_cselect_b32 s3, s3, s29
	s_cselect_b32 s2, s2, s28
	s_delay_alu instid0(SALU_CYCLE_1) | instskip(SKIP_1) | instid1(SALU_CYCLE_1)
	v_dual_mov_b32 v21, s3 :: v_dual_mov_b32 v20, s2
	s_and_b64 s[28:29], s[2:3], s[34:35]
	s_mul_u64 s[28:29], s[28:29], 24
	s_wait_loadcnt 0x0
	v_add_nc_u64_e32 v[14:15], s[28:29], v[18:19]
	global_store_b64 v[14:15], v[22:23], off
	global_wb scope:SCOPE_SYS
	s_wait_storecnt 0x0
	s_wait_xcnt 0x0
	global_atomic_cmpswap_b64 v[20:21], v1, v[20:23], s[20:21] offset:24 th:TH_ATOMIC_RETURN scope:SCOPE_SYS
	s_wait_loadcnt 0x0
	v_cmp_ne_u64_e32 vcc_lo, v[20:21], v[22:23]
	s_and_b32 exec_lo, exec_lo, vcc_lo
	s_cbranch_execz .LBB2_1294
; %bb.1368:                             ;   in Loop: Header=BB2_1295 Depth=2
	s_mov_b32 s28, 0
.LBB2_1369:                             ;   Parent Loop BB2_1266 Depth=1
                                        ;     Parent Loop BB2_1295 Depth=2
                                        ; =>    This Inner Loop Header: Depth=3
	v_dual_mov_b32 v18, s2 :: v_dual_mov_b32 v19, s3
	s_sleep 1
	global_store_b64 v[14:15], v[20:21], off
	global_wb scope:SCOPE_SYS
	s_wait_storecnt 0x0
	s_wait_xcnt 0x0
	global_atomic_cmpswap_b64 v[18:19], v1, v[18:21], s[20:21] offset:24 th:TH_ATOMIC_RETURN scope:SCOPE_SYS
	s_wait_loadcnt 0x0
	v_cmp_eq_u64_e32 vcc_lo, v[18:19], v[20:21]
	v_mov_b64_e32 v[20:21], v[18:19]
	s_or_b32 s28, vcc_lo, s28
	s_delay_alu instid0(SALU_CYCLE_1)
	s_and_not1_b32 exec_lo, exec_lo, s28
	s_cbranch_execnz .LBB2_1369
	s_branch .LBB2_1294
.LBB2_1370:                             ;   in Loop: Header=BB2_1266 Depth=1
	s_branch .LBB2_1399
.LBB2_1371:                             ;   in Loop: Header=BB2_1266 Depth=1
                                        ; implicit-def: $vgpr12_vgpr13
	s_cbranch_execz .LBB2_1399
; %bb.1372:                             ;   in Loop: Header=BB2_1266 Depth=1
	v_readfirstlane_b32 s2, v46
	v_mov_b64_e32 v[18:19], 0
	s_delay_alu instid0(VALU_DEP_2)
	v_cmp_eq_u32_e64 s2, s2, v46
	s_and_saveexec_b32 s3, s2
	s_cbranch_execz .LBB2_1378
; %bb.1373:                             ;   in Loop: Header=BB2_1266 Depth=1
	global_load_b64 v[14:15], v1, s[20:21] offset:24 scope:SCOPE_SYS
	s_wait_loadcnt 0x0
	global_inv scope:SCOPE_SYS
	s_clause 0x1
	global_load_b64 v[12:13], v1, s[20:21] offset:40
	global_load_b64 v[18:19], v1, s[20:21]
	s_mov_b32 s8, exec_lo
	s_wait_loadcnt 0x1
	v_and_b32_e32 v12, v12, v14
	v_and_b32_e32 v13, v13, v15
	s_delay_alu instid0(VALU_DEP_1) | instskip(SKIP_1) | instid1(VALU_DEP_1)
	v_mul_u64_e32 v[12:13], 24, v[12:13]
	s_wait_loadcnt 0x0
	v_add_nc_u64_e32 v[12:13], v[18:19], v[12:13]
	global_load_b64 v[12:13], v[12:13], off scope:SCOPE_SYS
	s_wait_xcnt 0x0
	s_wait_loadcnt 0x0
	global_atomic_cmpswap_b64 v[18:19], v1, v[12:15], s[20:21] offset:24 th:TH_ATOMIC_RETURN scope:SCOPE_SYS
	s_wait_loadcnt 0x0
	global_inv scope:SCOPE_SYS
	s_wait_xcnt 0x0
	v_cmpx_ne_u64_e64 v[18:19], v[14:15]
	s_cbranch_execz .LBB2_1377
; %bb.1374:                             ;   in Loop: Header=BB2_1266 Depth=1
	s_mov_b32 s9, 0
.LBB2_1375:                             ;   Parent Loop BB2_1266 Depth=1
                                        ; =>  This Inner Loop Header: Depth=2
	s_sleep 1
	s_clause 0x1
	global_load_b64 v[12:13], v1, s[20:21] offset:40
	global_load_b64 v[20:21], v1, s[20:21]
	v_mov_b64_e32 v[14:15], v[18:19]
	s_wait_loadcnt 0x1
	s_delay_alu instid0(VALU_DEP_1) | instskip(SKIP_1) | instid1(VALU_DEP_1)
	v_and_b32_e32 v0, v12, v14
	s_wait_loadcnt 0x0
	v_mad_nc_u64_u32 v[18:19], v0, 24, v[20:21]
	s_delay_alu instid0(VALU_DEP_3) | instskip(NEXT) | instid1(VALU_DEP_1)
	v_and_b32_e32 v0, v13, v15
	v_mad_u32 v19, v0, 24, v19
	global_load_b64 v[12:13], v[18:19], off scope:SCOPE_SYS
	s_wait_xcnt 0x0
	s_wait_loadcnt 0x0
	global_atomic_cmpswap_b64 v[18:19], v1, v[12:15], s[20:21] offset:24 th:TH_ATOMIC_RETURN scope:SCOPE_SYS
	s_wait_loadcnt 0x0
	global_inv scope:SCOPE_SYS
	v_cmp_eq_u64_e32 vcc_lo, v[18:19], v[14:15]
	s_or_b32 s9, vcc_lo, s9
	s_wait_xcnt 0x0
	s_and_not1_b32 exec_lo, exec_lo, s9
	s_cbranch_execnz .LBB2_1375
; %bb.1376:                             ;   in Loop: Header=BB2_1266 Depth=1
	s_or_b32 exec_lo, exec_lo, s9
.LBB2_1377:                             ;   in Loop: Header=BB2_1266 Depth=1
	s_delay_alu instid0(SALU_CYCLE_1)
	s_or_b32 exec_lo, exec_lo, s8
.LBB2_1378:                             ;   in Loop: Header=BB2_1266 Depth=1
	s_delay_alu instid0(SALU_CYCLE_1)
	s_or_b32 exec_lo, exec_lo, s3
	global_load_b64 v[20:21], v1, s[20:21] offset:40
	s_wait_loadcnt 0x1
	global_load_b128 v[12:15], v1, s[20:21]
	v_readfirstlane_b32 s8, v18
	v_readfirstlane_b32 s9, v19
	s_mov_b32 s3, exec_lo
	s_wait_loadcnt 0x1
	v_and_b32_e32 v18, s8, v20
	v_and_b32_e32 v19, s9, v21
	s_delay_alu instid0(VALU_DEP_1) | instskip(SKIP_1) | instid1(VALU_DEP_1)
	v_mul_u64_e32 v[20:21], 24, v[18:19]
	s_wait_loadcnt 0x0
	v_add_nc_u64_e32 v[20:21], v[12:13], v[20:21]
	s_wait_xcnt 0x0
	s_and_saveexec_b32 s10, s2
	s_cbranch_execz .LBB2_1380
; %bb.1379:                             ;   in Loop: Header=BB2_1266 Depth=1
	v_mov_b32_e32 v0, s3
	global_store_b128 v[20:21], v[0:3], off offset:8
.LBB2_1380:                             ;   in Loop: Header=BB2_1266 Depth=1
	s_wait_xcnt 0x0
	s_or_b32 exec_lo, exec_lo, s10
	v_lshlrev_b64_e32 v[18:19], 12, v[18:19]
	v_mov_b64_e32 v[26:27], s[6:7]
	v_mov_b64_e32 v[24:25], s[4:5]
	v_and_or_b32 v16, 0xffffff1f, v16, 32
	s_delay_alu instid0(VALU_DEP_4) | instskip(SKIP_1) | instid1(VALU_DEP_2)
	v_add_nc_u64_e32 v[22:23], v[14:15], v[18:19]
	v_dual_mov_b32 v18, v1 :: v_dual_mov_b32 v19, v1
	v_readfirstlane_b32 s10, v22
	s_delay_alu instid0(VALU_DEP_3)
	v_readfirstlane_b32 s11, v23
	s_clause 0x3
	global_store_b128 v38, v[16:19], s[10:11]
	global_store_b128 v38, v[24:27], s[10:11] offset:16
	global_store_b128 v38, v[24:27], s[10:11] offset:32
	;; [unrolled: 1-line block ×3, first 2 shown]
	s_wait_xcnt 0x0
	s_and_saveexec_b32 s3, s2
	s_cbranch_execz .LBB2_1388
; %bb.1381:                             ;   in Loop: Header=BB2_1266 Depth=1
	s_clause 0x1
	global_load_b64 v[26:27], v1, s[20:21] offset:32 scope:SCOPE_SYS
	global_load_b64 v[14:15], v1, s[20:21] offset:40
	s_mov_b32 s10, exec_lo
	v_dual_mov_b32 v24, s8 :: v_dual_mov_b32 v25, s9
	s_wait_loadcnt 0x0
	v_and_b32_e32 v15, s9, v15
	v_and_b32_e32 v14, s8, v14
	s_delay_alu instid0(VALU_DEP_1) | instskip(NEXT) | instid1(VALU_DEP_1)
	v_mul_u64_e32 v[14:15], 24, v[14:15]
	v_add_nc_u64_e32 v[16:17], v[12:13], v[14:15]
	global_store_b64 v[16:17], v[26:27], off
	global_wb scope:SCOPE_SYS
	s_wait_storecnt 0x0
	s_wait_xcnt 0x0
	global_atomic_cmpswap_b64 v[14:15], v1, v[24:27], s[20:21] offset:32 th:TH_ATOMIC_RETURN scope:SCOPE_SYS
	s_wait_loadcnt 0x0
	v_cmpx_ne_u64_e64 v[14:15], v[26:27]
	s_cbranch_execz .LBB2_1384
; %bb.1382:                             ;   in Loop: Header=BB2_1266 Depth=1
	s_mov_b32 s11, 0
.LBB2_1383:                             ;   Parent Loop BB2_1266 Depth=1
                                        ; =>  This Inner Loop Header: Depth=2
	v_dual_mov_b32 v12, s8 :: v_dual_mov_b32 v13, s9
	s_sleep 1
	global_store_b64 v[16:17], v[14:15], off
	global_wb scope:SCOPE_SYS
	s_wait_storecnt 0x0
	s_wait_xcnt 0x0
	global_atomic_cmpswap_b64 v[12:13], v1, v[12:15], s[20:21] offset:32 th:TH_ATOMIC_RETURN scope:SCOPE_SYS
	s_wait_loadcnt 0x0
	v_cmp_eq_u64_e32 vcc_lo, v[12:13], v[14:15]
	v_mov_b64_e32 v[14:15], v[12:13]
	s_or_b32 s11, vcc_lo, s11
	s_delay_alu instid0(SALU_CYCLE_1)
	s_and_not1_b32 exec_lo, exec_lo, s11
	s_cbranch_execnz .LBB2_1383
.LBB2_1384:                             ;   in Loop: Header=BB2_1266 Depth=1
	s_or_b32 exec_lo, exec_lo, s10
	global_load_b64 v[12:13], v1, s[20:21] offset:16
	s_mov_b32 s11, exec_lo
	s_mov_b32 s10, exec_lo
	v_mbcnt_lo_u32_b32 v0, s11, 0
	s_wait_xcnt 0x0
	s_delay_alu instid0(VALU_DEP_1)
	v_cmpx_eq_u32_e32 0, v0
	s_cbranch_execz .LBB2_1386
; %bb.1385:                             ;   in Loop: Header=BB2_1266 Depth=1
	s_bcnt1_i32_b32 s11, s11
	s_delay_alu instid0(SALU_CYCLE_1)
	v_mov_b32_e32 v0, s11
	global_wb scope:SCOPE_SYS
	s_wait_loadcnt 0x0
	s_wait_storecnt 0x0
	global_atomic_add_u64 v[12:13], v[0:1], off offset:8 scope:SCOPE_SYS
.LBB2_1386:                             ;   in Loop: Header=BB2_1266 Depth=1
	s_wait_xcnt 0x0
	s_or_b32 exec_lo, exec_lo, s10
	s_wait_loadcnt 0x0
	global_load_b64 v[14:15], v[12:13], off offset:16
	s_wait_loadcnt 0x0
	v_cmp_eq_u64_e32 vcc_lo, 0, v[14:15]
	s_cbranch_vccnz .LBB2_1388
; %bb.1387:                             ;   in Loop: Header=BB2_1266 Depth=1
	global_load_b32 v0, v[12:13], off offset:24
	s_wait_loadcnt 0x0
	v_readfirstlane_b32 s10, v0
	global_wb scope:SCOPE_SYS
	s_wait_storecnt 0x0
	s_wait_xcnt 0x0
	global_store_b64 v[14:15], v[0:1], off scope:SCOPE_SYS
	s_and_b32 m0, s10, 0xffffff
	s_sendmsg sendmsg(MSG_INTERRUPT)
.LBB2_1388:                             ;   in Loop: Header=BB2_1266 Depth=1
	s_wait_xcnt 0x0
	s_or_b32 exec_lo, exec_lo, s3
	v_mov_b32_e32 v39, v1
	s_delay_alu instid0(VALU_DEP_1)
	v_add_nc_u64_e32 v[12:13], v[22:23], v[38:39]
	s_branch .LBB2_1392
.LBB2_1389:                             ;   in Loop: Header=BB2_1392 Depth=2
	s_wait_xcnt 0x0
	s_or_b32 exec_lo, exec_lo, s3
	s_delay_alu instid0(VALU_DEP_1)
	v_readfirstlane_b32 s3, v0
	s_cmp_eq_u32 s3, 0
	s_cbranch_scc1 .LBB2_1391
; %bb.1390:                             ;   in Loop: Header=BB2_1392 Depth=2
	s_sleep 1
	s_cbranch_execnz .LBB2_1392
	s_branch .LBB2_1394
.LBB2_1391:                             ;   in Loop: Header=BB2_1266 Depth=1
	s_branch .LBB2_1394
.LBB2_1392:                             ;   Parent Loop BB2_1266 Depth=1
                                        ; =>  This Inner Loop Header: Depth=2
	v_mov_b32_e32 v0, 1
	s_and_saveexec_b32 s3, s2
	s_cbranch_execz .LBB2_1389
; %bb.1393:                             ;   in Loop: Header=BB2_1392 Depth=2
	global_load_b32 v0, v[20:21], off offset:20 scope:SCOPE_SYS
	s_wait_loadcnt 0x0
	global_inv scope:SCOPE_SYS
	v_and_b32_e32 v0, 1, v0
	s_branch .LBB2_1389
.LBB2_1394:                             ;   in Loop: Header=BB2_1266 Depth=1
	global_load_b64 v[12:13], v[12:13], off
	s_wait_xcnt 0x0
	s_and_saveexec_b32 s10, s2
	s_cbranch_execz .LBB2_1398
; %bb.1395:                             ;   in Loop: Header=BB2_1266 Depth=1
	s_clause 0x2
	global_load_b64 v[14:15], v1, s[20:21] offset:40
	global_load_b64 v[22:23], v1, s[20:21] offset:24 scope:SCOPE_SYS
	global_load_b64 v[16:17], v1, s[20:21]
	s_wait_loadcnt 0x2
	v_readfirstlane_b32 s26, v14
	v_readfirstlane_b32 s27, v15
	s_add_nc_u64 s[2:3], s[26:27], 1
	s_delay_alu instid0(SALU_CYCLE_1) | instskip(NEXT) | instid1(SALU_CYCLE_1)
	s_add_nc_u64 s[8:9], s[2:3], s[8:9]
	s_cmp_eq_u64 s[8:9], 0
	s_cselect_b32 s3, s3, s9
	s_cselect_b32 s2, s2, s8
	s_delay_alu instid0(SALU_CYCLE_1) | instskip(SKIP_1) | instid1(SALU_CYCLE_1)
	v_dual_mov_b32 v21, s3 :: v_dual_mov_b32 v20, s2
	s_and_b64 s[8:9], s[2:3], s[26:27]
	s_mul_u64 s[8:9], s[8:9], 24
	s_wait_loadcnt 0x0
	v_add_nc_u64_e32 v[18:19], s[8:9], v[16:17]
	global_store_b64 v[18:19], v[22:23], off
	global_wb scope:SCOPE_SYS
	s_wait_storecnt 0x0
	s_wait_xcnt 0x0
	global_atomic_cmpswap_b64 v[16:17], v1, v[20:23], s[20:21] offset:24 th:TH_ATOMIC_RETURN scope:SCOPE_SYS
	s_wait_loadcnt 0x0
	v_cmp_ne_u64_e32 vcc_lo, v[16:17], v[22:23]
	s_and_b32 exec_lo, exec_lo, vcc_lo
	s_cbranch_execz .LBB2_1398
; %bb.1396:                             ;   in Loop: Header=BB2_1266 Depth=1
	s_mov_b32 s8, 0
.LBB2_1397:                             ;   Parent Loop BB2_1266 Depth=1
                                        ; =>  This Inner Loop Header: Depth=2
	v_dual_mov_b32 v14, s2 :: v_dual_mov_b32 v15, s3
	s_sleep 1
	global_store_b64 v[18:19], v[16:17], off
	global_wb scope:SCOPE_SYS
	s_wait_storecnt 0x0
	s_wait_xcnt 0x0
	global_atomic_cmpswap_b64 v[14:15], v1, v[14:17], s[20:21] offset:24 th:TH_ATOMIC_RETURN scope:SCOPE_SYS
	s_wait_loadcnt 0x0
	v_cmp_eq_u64_e32 vcc_lo, v[14:15], v[16:17]
	v_mov_b64_e32 v[16:17], v[14:15]
	s_or_b32 s8, vcc_lo, s8
	s_delay_alu instid0(SALU_CYCLE_1)
	s_and_not1_b32 exec_lo, exec_lo, s8
	s_cbranch_execnz .LBB2_1397
.LBB2_1398:                             ;   in Loop: Header=BB2_1266 Depth=1
	s_or_b32 exec_lo, exec_lo, s10
.LBB2_1399:                             ;   in Loop: Header=BB2_1266 Depth=1
	s_bitcmp0_b32 s33, 0
	s_mov_b64 s[10:11], 0
	s_cselect_b32 s9, s25, s23
	s_cselect_b32 s8, s24, s22
	s_delay_alu instid0(SALU_CYCLE_1)
	s_cmp_lg_u64 s[8:9], 0
	s_cselect_b32 s26, -1, 0
	s_cmp_eq_u64 s[8:9], 0
	s_cbranch_scc1 .LBB2_1403
; %bb.1400:                             ;   in Loop: Header=BB2_1266 Depth=1
	s_add_nc_u64 s[2:3], s[8:9], -1
.LBB2_1401:                             ;   Parent Loop BB2_1266 Depth=1
                                        ; =>  This Inner Loop Header: Depth=2
	s_load_u8 s10, s[2:3], 0x1
	s_wait_xcnt 0x0
	s_add_nc_u64 s[2:3], s[2:3], 1
	s_wait_kmcnt 0x0
	s_cmp_lg_u32 s10, 0
	s_cbranch_scc1 .LBB2_1401
; %bb.1402:                             ;   in Loop: Header=BB2_1266 Depth=1
	s_sub_nc_u64 s[2:3], s[2:3], s[8:9]
	s_delay_alu instid0(SALU_CYCLE_1)
	s_add_nc_u64 s[10:11], s[2:3], 1
.LBB2_1403:                             ;   in Loop: Header=BB2_1266 Depth=1
	s_and_b32 vcc_lo, exec_lo, s26
	s_cbranch_vccz .LBB2_1482
; %bb.1404:                             ;   in Loop: Header=BB2_1266 Depth=1
	s_wait_loadcnt 0x0
	v_dual_mov_b32 v15, v13 :: v_dual_bitop2_b32 v36, 2, v12 bitop3:0x40
	v_and_b32_e32 v14, -3, v12
	s_branch .LBB2_1406
.LBB2_1405:                             ;   in Loop: Header=BB2_1406 Depth=2
	s_or_b32 exec_lo, exec_lo, s30
	s_sub_nc_u64 s[10:11], s[10:11], s[26:27]
	s_add_nc_u64 s[8:9], s[8:9], s[26:27]
	s_cmp_lg_u64 s[10:11], 0
	s_cbranch_scc0 .LBB2_1481
.LBB2_1406:                             ;   Parent Loop BB2_1266 Depth=1
                                        ; =>  This Loop Header: Depth=2
                                        ;       Child Loop BB2_1409 Depth 3
                                        ;       Child Loop BB2_1416 Depth 3
	;; [unrolled: 1-line block ×11, first 2 shown]
	v_min_u64 v[16:17], s[10:11], 56
	v_cmp_gt_u64_e64 s2, s[10:11], 7
	s_and_b32 vcc_lo, exec_lo, s2
	v_readfirstlane_b32 s26, v16
	v_readfirstlane_b32 s27, v17
	s_cbranch_vccnz .LBB2_1411
; %bb.1407:                             ;   in Loop: Header=BB2_1406 Depth=2
	v_mov_b64_e32 v[16:17], 0
	s_cmp_eq_u64 s[10:11], 0
	s_cbranch_scc1 .LBB2_1410
; %bb.1408:                             ;   in Loop: Header=BB2_1406 Depth=2
	s_mov_b64 s[2:3], 0
	s_mov_b64 s[28:29], 0
.LBB2_1409:                             ;   Parent Loop BB2_1266 Depth=1
                                        ;     Parent Loop BB2_1406 Depth=2
                                        ; =>    This Inner Loop Header: Depth=3
	s_wait_xcnt 0x0
	s_add_nc_u64 s[30:31], s[8:9], s[28:29]
	s_add_nc_u64 s[28:29], s[28:29], 1
	global_load_u8 v0, v1, s[30:31]
	s_cmp_lg_u32 s26, s28
	s_wait_loadcnt 0x0
	v_and_b32_e32 v0, 0xffff, v0
	s_delay_alu instid0(VALU_DEP_1) | instskip(SKIP_1) | instid1(VALU_DEP_1)
	v_lshlrev_b64_e32 v[18:19], s2, v[0:1]
	s_add_nc_u64 s[2:3], s[2:3], 8
	v_or_b32_e32 v16, v18, v16
	s_delay_alu instid0(VALU_DEP_2)
	v_or_b32_e32 v17, v19, v17
	s_cbranch_scc1 .LBB2_1409
.LBB2_1410:                             ;   in Loop: Header=BB2_1406 Depth=2
	s_mov_b64 s[2:3], s[8:9]
	s_mov_b32 s34, 0
	s_cbranch_execz .LBB2_1412
	s_branch .LBB2_1413
.LBB2_1411:                             ;   in Loop: Header=BB2_1406 Depth=2
	s_add_nc_u64 s[2:3], s[8:9], 8
	s_mov_b32 s34, 0
.LBB2_1412:                             ;   in Loop: Header=BB2_1406 Depth=2
	global_load_b64 v[16:17], v1, s[8:9]
	s_add_co_i32 s34, s26, -8
.LBB2_1413:                             ;   in Loop: Header=BB2_1406 Depth=2
	s_delay_alu instid0(SALU_CYCLE_1)
	s_cmp_gt_u32 s34, 7
	s_cbranch_scc1 .LBB2_1418
; %bb.1414:                             ;   in Loop: Header=BB2_1406 Depth=2
	v_mov_b64_e32 v[18:19], 0
	s_cmp_eq_u32 s34, 0
	s_cbranch_scc1 .LBB2_1417
; %bb.1415:                             ;   in Loop: Header=BB2_1406 Depth=2
	s_mov_b64 s[28:29], 0
	s_wait_xcnt 0x0
	s_mov_b64 s[30:31], 0
.LBB2_1416:                             ;   Parent Loop BB2_1266 Depth=1
                                        ;     Parent Loop BB2_1406 Depth=2
                                        ; =>    This Inner Loop Header: Depth=3
	s_wait_xcnt 0x0
	s_add_nc_u64 s[36:37], s[2:3], s[30:31]
	s_add_nc_u64 s[30:31], s[30:31], 1
	global_load_u8 v0, v1, s[36:37]
	s_cmp_lg_u32 s34, s30
	s_wait_loadcnt 0x0
	v_and_b32_e32 v0, 0xffff, v0
	s_delay_alu instid0(VALU_DEP_1) | instskip(SKIP_1) | instid1(VALU_DEP_1)
	v_lshlrev_b64_e32 v[20:21], s28, v[0:1]
	s_add_nc_u64 s[28:29], s[28:29], 8
	v_or_b32_e32 v18, v20, v18
	s_delay_alu instid0(VALU_DEP_2)
	v_or_b32_e32 v19, v21, v19
	s_cbranch_scc1 .LBB2_1416
.LBB2_1417:                             ;   in Loop: Header=BB2_1406 Depth=2
	s_wait_xcnt 0x0
	s_mov_b64 s[28:29], s[2:3]
	s_mov_b32 s35, 0
	s_cbranch_execz .LBB2_1419
	s_branch .LBB2_1420
.LBB2_1418:                             ;   in Loop: Header=BB2_1406 Depth=2
	s_add_nc_u64 s[28:29], s[2:3], 8
	s_wait_xcnt 0x0
                                        ; implicit-def: $vgpr18_vgpr19
	s_mov_b32 s35, 0
.LBB2_1419:                             ;   in Loop: Header=BB2_1406 Depth=2
	global_load_b64 v[18:19], v1, s[2:3]
	s_add_co_i32 s35, s34, -8
.LBB2_1420:                             ;   in Loop: Header=BB2_1406 Depth=2
	s_delay_alu instid0(SALU_CYCLE_1)
	s_cmp_gt_u32 s35, 7
	s_cbranch_scc1 .LBB2_1425
; %bb.1421:                             ;   in Loop: Header=BB2_1406 Depth=2
	v_mov_b64_e32 v[20:21], 0
	s_cmp_eq_u32 s35, 0
	s_cbranch_scc1 .LBB2_1424
; %bb.1422:                             ;   in Loop: Header=BB2_1406 Depth=2
	s_wait_xcnt 0x0
	s_mov_b64 s[2:3], 0
	s_mov_b64 s[30:31], 0
.LBB2_1423:                             ;   Parent Loop BB2_1266 Depth=1
                                        ;     Parent Loop BB2_1406 Depth=2
                                        ; =>    This Inner Loop Header: Depth=3
	s_wait_xcnt 0x0
	s_add_nc_u64 s[36:37], s[28:29], s[30:31]
	s_add_nc_u64 s[30:31], s[30:31], 1
	global_load_u8 v0, v1, s[36:37]
	s_cmp_lg_u32 s35, s30
	s_wait_loadcnt 0x0
	v_and_b32_e32 v0, 0xffff, v0
	s_delay_alu instid0(VALU_DEP_1) | instskip(SKIP_1) | instid1(VALU_DEP_1)
	v_lshlrev_b64_e32 v[22:23], s2, v[0:1]
	s_add_nc_u64 s[2:3], s[2:3], 8
	v_or_b32_e32 v20, v22, v20
	s_delay_alu instid0(VALU_DEP_2)
	v_or_b32_e32 v21, v23, v21
	s_cbranch_scc1 .LBB2_1423
.LBB2_1424:                             ;   in Loop: Header=BB2_1406 Depth=2
	s_wait_xcnt 0x0
	s_mov_b64 s[2:3], s[28:29]
	s_mov_b32 s34, 0
	s_cbranch_execz .LBB2_1426
	s_branch .LBB2_1427
.LBB2_1425:                             ;   in Loop: Header=BB2_1406 Depth=2
	s_wait_xcnt 0x0
	s_add_nc_u64 s[2:3], s[28:29], 8
	s_mov_b32 s34, 0
.LBB2_1426:                             ;   in Loop: Header=BB2_1406 Depth=2
	global_load_b64 v[20:21], v1, s[28:29]
	s_add_co_i32 s34, s35, -8
.LBB2_1427:                             ;   in Loop: Header=BB2_1406 Depth=2
	s_delay_alu instid0(SALU_CYCLE_1)
	s_cmp_gt_u32 s34, 7
	s_cbranch_scc1 .LBB2_1432
; %bb.1428:                             ;   in Loop: Header=BB2_1406 Depth=2
	v_mov_b64_e32 v[22:23], 0
	s_cmp_eq_u32 s34, 0
	s_cbranch_scc1 .LBB2_1431
; %bb.1429:                             ;   in Loop: Header=BB2_1406 Depth=2
	s_wait_xcnt 0x0
	s_mov_b64 s[28:29], 0
	s_mov_b64 s[30:31], 0
.LBB2_1430:                             ;   Parent Loop BB2_1266 Depth=1
                                        ;     Parent Loop BB2_1406 Depth=2
                                        ; =>    This Inner Loop Header: Depth=3
	s_wait_xcnt 0x0
	s_add_nc_u64 s[36:37], s[2:3], s[30:31]
	s_add_nc_u64 s[30:31], s[30:31], 1
	global_load_u8 v0, v1, s[36:37]
	s_cmp_lg_u32 s34, s30
	s_wait_loadcnt 0x0
	v_and_b32_e32 v0, 0xffff, v0
	s_delay_alu instid0(VALU_DEP_1) | instskip(SKIP_1) | instid1(VALU_DEP_1)
	v_lshlrev_b64_e32 v[24:25], s28, v[0:1]
	s_add_nc_u64 s[28:29], s[28:29], 8
	v_or_b32_e32 v22, v24, v22
	s_delay_alu instid0(VALU_DEP_2)
	v_or_b32_e32 v23, v25, v23
	s_cbranch_scc1 .LBB2_1430
.LBB2_1431:                             ;   in Loop: Header=BB2_1406 Depth=2
	s_wait_xcnt 0x0
	s_mov_b64 s[28:29], s[2:3]
	s_mov_b32 s35, 0
	s_cbranch_execz .LBB2_1433
	s_branch .LBB2_1434
.LBB2_1432:                             ;   in Loop: Header=BB2_1406 Depth=2
	s_wait_xcnt 0x0
	s_add_nc_u64 s[28:29], s[2:3], 8
                                        ; implicit-def: $vgpr22_vgpr23
	s_mov_b32 s35, 0
.LBB2_1433:                             ;   in Loop: Header=BB2_1406 Depth=2
	global_load_b64 v[22:23], v1, s[2:3]
	s_add_co_i32 s35, s34, -8
.LBB2_1434:                             ;   in Loop: Header=BB2_1406 Depth=2
	s_delay_alu instid0(SALU_CYCLE_1)
	s_cmp_gt_u32 s35, 7
	s_cbranch_scc1 .LBB2_1439
; %bb.1435:                             ;   in Loop: Header=BB2_1406 Depth=2
	v_mov_b64_e32 v[24:25], 0
	s_cmp_eq_u32 s35, 0
	s_cbranch_scc1 .LBB2_1438
; %bb.1436:                             ;   in Loop: Header=BB2_1406 Depth=2
	s_wait_xcnt 0x0
	s_mov_b64 s[2:3], 0
	s_mov_b64 s[30:31], 0
.LBB2_1437:                             ;   Parent Loop BB2_1266 Depth=1
                                        ;     Parent Loop BB2_1406 Depth=2
                                        ; =>    This Inner Loop Header: Depth=3
	s_wait_xcnt 0x0
	s_add_nc_u64 s[36:37], s[28:29], s[30:31]
	s_add_nc_u64 s[30:31], s[30:31], 1
	global_load_u8 v0, v1, s[36:37]
	s_cmp_lg_u32 s35, s30
	s_wait_loadcnt 0x0
	v_and_b32_e32 v0, 0xffff, v0
	s_delay_alu instid0(VALU_DEP_1) | instskip(SKIP_1) | instid1(VALU_DEP_1)
	v_lshlrev_b64_e32 v[26:27], s2, v[0:1]
	s_add_nc_u64 s[2:3], s[2:3], 8
	v_or_b32_e32 v24, v26, v24
	s_delay_alu instid0(VALU_DEP_2)
	v_or_b32_e32 v25, v27, v25
	s_cbranch_scc1 .LBB2_1437
.LBB2_1438:                             ;   in Loop: Header=BB2_1406 Depth=2
	s_wait_xcnt 0x0
	s_mov_b64 s[2:3], s[28:29]
	s_mov_b32 s34, 0
	s_cbranch_execz .LBB2_1440
	s_branch .LBB2_1441
.LBB2_1439:                             ;   in Loop: Header=BB2_1406 Depth=2
	s_wait_xcnt 0x0
	s_add_nc_u64 s[2:3], s[28:29], 8
	s_mov_b32 s34, 0
.LBB2_1440:                             ;   in Loop: Header=BB2_1406 Depth=2
	global_load_b64 v[24:25], v1, s[28:29]
	s_add_co_i32 s34, s35, -8
.LBB2_1441:                             ;   in Loop: Header=BB2_1406 Depth=2
	s_delay_alu instid0(SALU_CYCLE_1)
	s_cmp_gt_u32 s34, 7
	s_cbranch_scc1 .LBB2_1446
; %bb.1442:                             ;   in Loop: Header=BB2_1406 Depth=2
	v_mov_b64_e32 v[26:27], 0
	s_cmp_eq_u32 s34, 0
	s_cbranch_scc1 .LBB2_1445
; %bb.1443:                             ;   in Loop: Header=BB2_1406 Depth=2
	s_wait_xcnt 0x0
	s_mov_b64 s[28:29], 0
	s_mov_b64 s[30:31], 0
.LBB2_1444:                             ;   Parent Loop BB2_1266 Depth=1
                                        ;     Parent Loop BB2_1406 Depth=2
                                        ; =>    This Inner Loop Header: Depth=3
	s_wait_xcnt 0x0
	s_add_nc_u64 s[36:37], s[2:3], s[30:31]
	s_add_nc_u64 s[30:31], s[30:31], 1
	global_load_u8 v0, v1, s[36:37]
	s_cmp_lg_u32 s34, s30
	s_wait_loadcnt 0x0
	v_and_b32_e32 v0, 0xffff, v0
	s_delay_alu instid0(VALU_DEP_1) | instskip(SKIP_1) | instid1(VALU_DEP_1)
	v_lshlrev_b64_e32 v[28:29], s28, v[0:1]
	s_add_nc_u64 s[28:29], s[28:29], 8
	v_or_b32_e32 v26, v28, v26
	s_delay_alu instid0(VALU_DEP_2)
	v_or_b32_e32 v27, v29, v27
	s_cbranch_scc1 .LBB2_1444
.LBB2_1445:                             ;   in Loop: Header=BB2_1406 Depth=2
	s_wait_xcnt 0x0
	s_mov_b64 s[28:29], s[2:3]
	s_mov_b32 s35, 0
	s_cbranch_execz .LBB2_1447
	s_branch .LBB2_1448
.LBB2_1446:                             ;   in Loop: Header=BB2_1406 Depth=2
	s_wait_xcnt 0x0
	s_add_nc_u64 s[28:29], s[2:3], 8
                                        ; implicit-def: $vgpr26_vgpr27
	s_mov_b32 s35, 0
.LBB2_1447:                             ;   in Loop: Header=BB2_1406 Depth=2
	global_load_b64 v[26:27], v1, s[2:3]
	s_add_co_i32 s35, s34, -8
.LBB2_1448:                             ;   in Loop: Header=BB2_1406 Depth=2
	s_delay_alu instid0(SALU_CYCLE_1)
	s_cmp_gt_u32 s35, 7
	s_cbranch_scc1 .LBB2_1453
; %bb.1449:                             ;   in Loop: Header=BB2_1406 Depth=2
	v_mov_b64_e32 v[28:29], 0
	s_cmp_eq_u32 s35, 0
	s_cbranch_scc1 .LBB2_1452
; %bb.1450:                             ;   in Loop: Header=BB2_1406 Depth=2
	s_wait_xcnt 0x0
	s_mov_b64 s[2:3], 0
	s_mov_b64 s[30:31], s[28:29]
.LBB2_1451:                             ;   Parent Loop BB2_1266 Depth=1
                                        ;     Parent Loop BB2_1406 Depth=2
                                        ; =>    This Inner Loop Header: Depth=3
	global_load_u8 v0, v1, s[30:31]
	s_add_co_i32 s35, s35, -1
	s_wait_xcnt 0x0
	s_add_nc_u64 s[30:31], s[30:31], 1
	s_cmp_lg_u32 s35, 0
	s_wait_loadcnt 0x0
	v_and_b32_e32 v0, 0xffff, v0
	s_delay_alu instid0(VALU_DEP_1) | instskip(SKIP_1) | instid1(VALU_DEP_1)
	v_lshlrev_b64_e32 v[30:31], s2, v[0:1]
	s_add_nc_u64 s[2:3], s[2:3], 8
	v_or_b32_e32 v28, v30, v28
	s_delay_alu instid0(VALU_DEP_2)
	v_or_b32_e32 v29, v31, v29
	s_cbranch_scc1 .LBB2_1451
.LBB2_1452:                             ;   in Loop: Header=BB2_1406 Depth=2
	s_wait_xcnt 0x0
	s_cbranch_execz .LBB2_1454
	s_branch .LBB2_1455
.LBB2_1453:                             ;   in Loop: Header=BB2_1406 Depth=2
	s_wait_xcnt 0x0
.LBB2_1454:                             ;   in Loop: Header=BB2_1406 Depth=2
	global_load_b64 v[28:29], v1, s[28:29]
.LBB2_1455:                             ;   in Loop: Header=BB2_1406 Depth=2
	v_readfirstlane_b32 s2, v46
	v_mov_b64_e32 v[40:41], 0
	s_delay_alu instid0(VALU_DEP_2)
	v_cmp_eq_u32_e64 s2, s2, v46
	s_wait_xcnt 0x0
	s_and_saveexec_b32 s3, s2
	s_cbranch_execz .LBB2_1461
; %bb.1456:                             ;   in Loop: Header=BB2_1406 Depth=2
	global_load_b64 v[32:33], v1, s[20:21] offset:24 scope:SCOPE_SYS
	s_wait_loadcnt 0x0
	global_inv scope:SCOPE_SYS
	s_clause 0x1
	global_load_b64 v[30:31], v1, s[20:21] offset:40
	global_load_b64 v[40:41], v1, s[20:21]
	s_mov_b32 s28, exec_lo
	s_wait_loadcnt 0x1
	v_and_b32_e32 v30, v30, v32
	v_and_b32_e32 v31, v31, v33
	s_delay_alu instid0(VALU_DEP_1) | instskip(SKIP_1) | instid1(VALU_DEP_1)
	v_mul_u64_e32 v[30:31], 24, v[30:31]
	s_wait_loadcnt 0x0
	v_add_nc_u64_e32 v[30:31], v[40:41], v[30:31]
	global_load_b64 v[30:31], v[30:31], off scope:SCOPE_SYS
	s_wait_xcnt 0x0
	s_wait_loadcnt 0x0
	global_atomic_cmpswap_b64 v[40:41], v1, v[30:33], s[20:21] offset:24 th:TH_ATOMIC_RETURN scope:SCOPE_SYS
	s_wait_loadcnt 0x0
	global_inv scope:SCOPE_SYS
	s_wait_xcnt 0x0
	v_cmpx_ne_u64_e64 v[40:41], v[32:33]
	s_cbranch_execz .LBB2_1460
; %bb.1457:                             ;   in Loop: Header=BB2_1406 Depth=2
	s_mov_b32 s29, 0
.LBB2_1458:                             ;   Parent Loop BB2_1266 Depth=1
                                        ;     Parent Loop BB2_1406 Depth=2
                                        ; =>    This Inner Loop Header: Depth=3
	s_sleep 1
	s_clause 0x1
	global_load_b64 v[30:31], v1, s[20:21] offset:40
	global_load_b64 v[42:43], v1, s[20:21]
	v_mov_b64_e32 v[32:33], v[40:41]
	s_wait_loadcnt 0x1
	s_delay_alu instid0(VALU_DEP_1) | instskip(SKIP_1) | instid1(VALU_DEP_1)
	v_and_b32_e32 v0, v30, v32
	s_wait_loadcnt 0x0
	v_mad_nc_u64_u32 v[40:41], v0, 24, v[42:43]
	s_delay_alu instid0(VALU_DEP_3) | instskip(NEXT) | instid1(VALU_DEP_1)
	v_and_b32_e32 v0, v31, v33
	v_mad_u32 v41, v0, 24, v41
	global_load_b64 v[30:31], v[40:41], off scope:SCOPE_SYS
	s_wait_xcnt 0x0
	s_wait_loadcnt 0x0
	global_atomic_cmpswap_b64 v[40:41], v1, v[30:33], s[20:21] offset:24 th:TH_ATOMIC_RETURN scope:SCOPE_SYS
	s_wait_loadcnt 0x0
	global_inv scope:SCOPE_SYS
	v_cmp_eq_u64_e32 vcc_lo, v[40:41], v[32:33]
	s_or_b32 s29, vcc_lo, s29
	s_wait_xcnt 0x0
	s_and_not1_b32 exec_lo, exec_lo, s29
	s_cbranch_execnz .LBB2_1458
; %bb.1459:                             ;   in Loop: Header=BB2_1406 Depth=2
	s_or_b32 exec_lo, exec_lo, s29
.LBB2_1460:                             ;   in Loop: Header=BB2_1406 Depth=2
	s_delay_alu instid0(SALU_CYCLE_1)
	s_or_b32 exec_lo, exec_lo, s28
.LBB2_1461:                             ;   in Loop: Header=BB2_1406 Depth=2
	s_delay_alu instid0(SALU_CYCLE_1)
	s_or_b32 exec_lo, exec_lo, s3
	s_clause 0x1
	global_load_b64 v[42:43], v1, s[20:21] offset:40
	global_load_b128 v[30:33], v1, s[20:21]
	v_readfirstlane_b32 s28, v40
	v_readfirstlane_b32 s29, v41
	s_mov_b32 s3, exec_lo
	s_wait_loadcnt 0x1
	v_and_b32_e32 v42, s28, v42
	v_and_b32_e32 v43, s29, v43
	s_delay_alu instid0(VALU_DEP_1) | instskip(SKIP_1) | instid1(VALU_DEP_1)
	v_mul_u64_e32 v[40:41], 24, v[42:43]
	s_wait_loadcnt 0x0
	v_add_nc_u64_e32 v[40:41], v[30:31], v[40:41]
	s_wait_xcnt 0x0
	s_and_saveexec_b32 s30, s2
	s_cbranch_execz .LBB2_1463
; %bb.1462:                             ;   in Loop: Header=BB2_1406 Depth=2
	v_mov_b32_e32 v0, s3
	global_store_b128 v[40:41], v[0:3], off offset:8
.LBB2_1463:                             ;   in Loop: Header=BB2_1406 Depth=2
	s_wait_xcnt 0x0
	s_or_b32 exec_lo, exec_lo, s30
	v_cmp_lt_u64_e64 vcc_lo, s[10:11], 57
	v_lshlrev_b64_e32 v[42:43], 12, v[42:43]
	v_and_b32_e32 v14, 0xffffff1f, v14
	s_lshl_b32 s3, s26, 2
	s_delay_alu instid0(SALU_CYCLE_1) | instskip(SKIP_1) | instid1(VALU_DEP_3)
	s_add_co_i32 s3, s3, 28
	v_cndmask_b32_e32 v0, 0, v36, vcc_lo
	v_add_nc_u64_e32 v[32:33], v[32:33], v[42:43]
	s_delay_alu instid0(VALU_DEP_2) | instskip(NEXT) | instid1(VALU_DEP_2)
	v_or_b32_e32 v0, v14, v0
	v_readfirstlane_b32 s30, v32
	s_delay_alu instid0(VALU_DEP_3) | instskip(NEXT) | instid1(VALU_DEP_3)
	v_readfirstlane_b32 s31, v33
	v_and_or_b32 v14, 0x1e0, s3, v0
	s_clause 0x3
	global_store_b128 v38, v[14:17], s[30:31]
	global_store_b128 v38, v[18:21], s[30:31] offset:16
	global_store_b128 v38, v[22:25], s[30:31] offset:32
	global_store_b128 v38, v[26:29], s[30:31] offset:48
	s_wait_xcnt 0x0
	s_and_saveexec_b32 s3, s2
	s_cbranch_execz .LBB2_1471
; %bb.1464:                             ;   in Loop: Header=BB2_1406 Depth=2
	s_clause 0x1
	global_load_b64 v[22:23], v1, s[20:21] offset:32 scope:SCOPE_SYS
	global_load_b64 v[14:15], v1, s[20:21] offset:40
	s_mov_b32 s30, exec_lo
	v_dual_mov_b32 v20, s28 :: v_dual_mov_b32 v21, s29
	s_wait_loadcnt 0x0
	v_and_b32_e32 v15, s29, v15
	v_and_b32_e32 v14, s28, v14
	s_delay_alu instid0(VALU_DEP_1) | instskip(NEXT) | instid1(VALU_DEP_1)
	v_mul_u64_e32 v[14:15], 24, v[14:15]
	v_add_nc_u64_e32 v[18:19], v[30:31], v[14:15]
	global_store_b64 v[18:19], v[22:23], off
	global_wb scope:SCOPE_SYS
	s_wait_storecnt 0x0
	s_wait_xcnt 0x0
	global_atomic_cmpswap_b64 v[16:17], v1, v[20:23], s[20:21] offset:32 th:TH_ATOMIC_RETURN scope:SCOPE_SYS
	s_wait_loadcnt 0x0
	v_cmpx_ne_u64_e64 v[16:17], v[22:23]
	s_cbranch_execz .LBB2_1467
; %bb.1465:                             ;   in Loop: Header=BB2_1406 Depth=2
	s_mov_b32 s31, 0
.LBB2_1466:                             ;   Parent Loop BB2_1266 Depth=1
                                        ;     Parent Loop BB2_1406 Depth=2
                                        ; =>    This Inner Loop Header: Depth=3
	v_dual_mov_b32 v14, s28 :: v_dual_mov_b32 v15, s29
	s_sleep 1
	global_store_b64 v[18:19], v[16:17], off
	global_wb scope:SCOPE_SYS
	s_wait_storecnt 0x0
	s_wait_xcnt 0x0
	global_atomic_cmpswap_b64 v[14:15], v1, v[14:17], s[20:21] offset:32 th:TH_ATOMIC_RETURN scope:SCOPE_SYS
	s_wait_loadcnt 0x0
	v_cmp_eq_u64_e32 vcc_lo, v[14:15], v[16:17]
	v_mov_b64_e32 v[16:17], v[14:15]
	s_or_b32 s31, vcc_lo, s31
	s_delay_alu instid0(SALU_CYCLE_1)
	s_and_not1_b32 exec_lo, exec_lo, s31
	s_cbranch_execnz .LBB2_1466
.LBB2_1467:                             ;   in Loop: Header=BB2_1406 Depth=2
	s_or_b32 exec_lo, exec_lo, s30
	global_load_b64 v[14:15], v1, s[20:21] offset:16
	s_mov_b32 s31, exec_lo
	s_mov_b32 s30, exec_lo
	v_mbcnt_lo_u32_b32 v0, s31, 0
	s_wait_xcnt 0x0
	s_delay_alu instid0(VALU_DEP_1)
	v_cmpx_eq_u32_e32 0, v0
	s_cbranch_execz .LBB2_1469
; %bb.1468:                             ;   in Loop: Header=BB2_1406 Depth=2
	s_bcnt1_i32_b32 s31, s31
	s_delay_alu instid0(SALU_CYCLE_1)
	v_mov_b32_e32 v0, s31
	global_wb scope:SCOPE_SYS
	s_wait_loadcnt 0x0
	s_wait_storecnt 0x0
	global_atomic_add_u64 v[14:15], v[0:1], off offset:8 scope:SCOPE_SYS
.LBB2_1469:                             ;   in Loop: Header=BB2_1406 Depth=2
	s_wait_xcnt 0x0
	s_or_b32 exec_lo, exec_lo, s30
	s_wait_loadcnt 0x0
	global_load_b64 v[16:17], v[14:15], off offset:16
	s_wait_loadcnt 0x0
	v_cmp_eq_u64_e32 vcc_lo, 0, v[16:17]
	s_cbranch_vccnz .LBB2_1471
; %bb.1470:                             ;   in Loop: Header=BB2_1406 Depth=2
	global_load_b32 v0, v[14:15], off offset:24
	s_wait_loadcnt 0x0
	v_readfirstlane_b32 s30, v0
	global_wb scope:SCOPE_SYS
	s_wait_storecnt 0x0
	s_wait_xcnt 0x0
	global_store_b64 v[16:17], v[0:1], off scope:SCOPE_SYS
	s_and_b32 m0, s30, 0xffffff
	s_sendmsg sendmsg(MSG_INTERRUPT)
.LBB2_1471:                             ;   in Loop: Header=BB2_1406 Depth=2
	s_wait_xcnt 0x0
	s_or_b32 exec_lo, exec_lo, s3
	v_mov_b32_e32 v39, v1
	s_delay_alu instid0(VALU_DEP_1)
	v_add_nc_u64_e32 v[14:15], v[32:33], v[38:39]
	s_branch .LBB2_1475
.LBB2_1472:                             ;   in Loop: Header=BB2_1475 Depth=3
	s_wait_xcnt 0x0
	s_or_b32 exec_lo, exec_lo, s3
	s_delay_alu instid0(VALU_DEP_1)
	v_readfirstlane_b32 s3, v0
	s_cmp_eq_u32 s3, 0
	s_cbranch_scc1 .LBB2_1474
; %bb.1473:                             ;   in Loop: Header=BB2_1475 Depth=3
	s_sleep 1
	s_cbranch_execnz .LBB2_1475
	s_branch .LBB2_1477
.LBB2_1474:                             ;   in Loop: Header=BB2_1406 Depth=2
	s_branch .LBB2_1477
.LBB2_1475:                             ;   Parent Loop BB2_1266 Depth=1
                                        ;     Parent Loop BB2_1406 Depth=2
                                        ; =>    This Inner Loop Header: Depth=3
	v_mov_b32_e32 v0, 1
	s_and_saveexec_b32 s3, s2
	s_cbranch_execz .LBB2_1472
; %bb.1476:                             ;   in Loop: Header=BB2_1475 Depth=3
	global_load_b32 v0, v[40:41], off offset:20 scope:SCOPE_SYS
	s_wait_loadcnt 0x0
	global_inv scope:SCOPE_SYS
	v_and_b32_e32 v0, 1, v0
	s_branch .LBB2_1472
.LBB2_1477:                             ;   in Loop: Header=BB2_1406 Depth=2
	global_load_b64 v[14:15], v[14:15], off
	s_wait_xcnt 0x0
	s_and_saveexec_b32 s30, s2
	s_cbranch_execz .LBB2_1405
; %bb.1478:                             ;   in Loop: Header=BB2_1406 Depth=2
	s_clause 0x2
	global_load_b64 v[16:17], v1, s[20:21] offset:40
	global_load_b64 v[24:25], v1, s[20:21] offset:24 scope:SCOPE_SYS
	global_load_b64 v[18:19], v1, s[20:21]
	s_wait_loadcnt 0x2
	v_readfirstlane_b32 s34, v16
	v_readfirstlane_b32 s35, v17
	s_add_nc_u64 s[2:3], s[34:35], 1
	s_delay_alu instid0(SALU_CYCLE_1) | instskip(NEXT) | instid1(SALU_CYCLE_1)
	s_add_nc_u64 s[28:29], s[2:3], s[28:29]
	s_cmp_eq_u64 s[28:29], 0
	s_cselect_b32 s3, s3, s29
	s_cselect_b32 s2, s2, s28
	s_delay_alu instid0(SALU_CYCLE_1) | instskip(SKIP_1) | instid1(SALU_CYCLE_1)
	v_dual_mov_b32 v23, s3 :: v_dual_mov_b32 v22, s2
	s_and_b64 s[28:29], s[2:3], s[34:35]
	s_mul_u64 s[28:29], s[28:29], 24
	s_wait_loadcnt 0x0
	v_add_nc_u64_e32 v[20:21], s[28:29], v[18:19]
	global_store_b64 v[20:21], v[24:25], off
	global_wb scope:SCOPE_SYS
	s_wait_storecnt 0x0
	s_wait_xcnt 0x0
	global_atomic_cmpswap_b64 v[18:19], v1, v[22:25], s[20:21] offset:24 th:TH_ATOMIC_RETURN scope:SCOPE_SYS
	s_wait_loadcnt 0x0
	v_cmp_ne_u64_e32 vcc_lo, v[18:19], v[24:25]
	s_and_b32 exec_lo, exec_lo, vcc_lo
	s_cbranch_execz .LBB2_1405
; %bb.1479:                             ;   in Loop: Header=BB2_1406 Depth=2
	s_mov_b32 s28, 0
.LBB2_1480:                             ;   Parent Loop BB2_1266 Depth=1
                                        ;     Parent Loop BB2_1406 Depth=2
                                        ; =>    This Inner Loop Header: Depth=3
	v_dual_mov_b32 v16, s2 :: v_dual_mov_b32 v17, s3
	s_sleep 1
	global_store_b64 v[20:21], v[18:19], off
	global_wb scope:SCOPE_SYS
	s_wait_storecnt 0x0
	s_wait_xcnt 0x0
	global_atomic_cmpswap_b64 v[16:17], v1, v[16:19], s[20:21] offset:24 th:TH_ATOMIC_RETURN scope:SCOPE_SYS
	s_wait_loadcnt 0x0
	v_cmp_eq_u64_e32 vcc_lo, v[16:17], v[18:19]
	v_mov_b64_e32 v[18:19], v[16:17]
	s_or_b32 s28, vcc_lo, s28
	s_delay_alu instid0(SALU_CYCLE_1)
	s_and_not1_b32 exec_lo, exec_lo, s28
	s_cbranch_execnz .LBB2_1480
	s_branch .LBB2_1405
.LBB2_1481:                             ;   in Loop: Header=BB2_1266 Depth=1
	s_branch .LBB2_1510
.LBB2_1482:                             ;   in Loop: Header=BB2_1266 Depth=1
                                        ; implicit-def: $vgpr14_vgpr15
	s_cbranch_execz .LBB2_1510
; %bb.1483:                             ;   in Loop: Header=BB2_1266 Depth=1
	v_readfirstlane_b32 s2, v46
	s_wait_loadcnt 0x0
	v_mov_b64_e32 v[14:15], 0
	s_delay_alu instid0(VALU_DEP_2)
	v_cmp_eq_u32_e64 s2, s2, v46
	s_and_saveexec_b32 s3, s2
	s_cbranch_execz .LBB2_1489
; %bb.1484:                             ;   in Loop: Header=BB2_1266 Depth=1
	global_load_b64 v[16:17], v1, s[20:21] offset:24 scope:SCOPE_SYS
	s_wait_loadcnt 0x0
	global_inv scope:SCOPE_SYS
	s_clause 0x1
	global_load_b64 v[14:15], v1, s[20:21] offset:40
	global_load_b64 v[18:19], v1, s[20:21]
	s_mov_b32 s8, exec_lo
	s_wait_loadcnt 0x1
	v_and_b32_e32 v14, v14, v16
	v_and_b32_e32 v15, v15, v17
	s_delay_alu instid0(VALU_DEP_1) | instskip(SKIP_1) | instid1(VALU_DEP_1)
	v_mul_u64_e32 v[14:15], 24, v[14:15]
	s_wait_loadcnt 0x0
	v_add_nc_u64_e32 v[14:15], v[18:19], v[14:15]
	global_load_b64 v[14:15], v[14:15], off scope:SCOPE_SYS
	s_wait_xcnt 0x0
	s_wait_loadcnt 0x0
	global_atomic_cmpswap_b64 v[14:15], v1, v[14:17], s[20:21] offset:24 th:TH_ATOMIC_RETURN scope:SCOPE_SYS
	s_wait_loadcnt 0x0
	global_inv scope:SCOPE_SYS
	s_wait_xcnt 0x0
	v_cmpx_ne_u64_e64 v[14:15], v[16:17]
	s_cbranch_execz .LBB2_1488
; %bb.1485:                             ;   in Loop: Header=BB2_1266 Depth=1
	s_mov_b32 s9, 0
.LBB2_1486:                             ;   Parent Loop BB2_1266 Depth=1
                                        ; =>  This Inner Loop Header: Depth=2
	s_sleep 1
	s_clause 0x1
	global_load_b64 v[18:19], v1, s[20:21] offset:40
	global_load_b64 v[20:21], v1, s[20:21]
	v_mov_b64_e32 v[16:17], v[14:15]
	s_wait_loadcnt 0x1
	s_delay_alu instid0(VALU_DEP_1) | instskip(SKIP_1) | instid1(VALU_DEP_1)
	v_and_b32_e32 v0, v18, v16
	s_wait_loadcnt 0x0
	v_mad_nc_u64_u32 v[14:15], v0, 24, v[20:21]
	s_delay_alu instid0(VALU_DEP_3) | instskip(NEXT) | instid1(VALU_DEP_1)
	v_and_b32_e32 v0, v19, v17
	v_mad_u32 v15, v0, 24, v15
	global_load_b64 v[14:15], v[14:15], off scope:SCOPE_SYS
	s_wait_xcnt 0x0
	s_wait_loadcnt 0x0
	global_atomic_cmpswap_b64 v[14:15], v1, v[14:17], s[20:21] offset:24 th:TH_ATOMIC_RETURN scope:SCOPE_SYS
	s_wait_loadcnt 0x0
	global_inv scope:SCOPE_SYS
	v_cmp_eq_u64_e32 vcc_lo, v[14:15], v[16:17]
	s_or_b32 s9, vcc_lo, s9
	s_wait_xcnt 0x0
	s_and_not1_b32 exec_lo, exec_lo, s9
	s_cbranch_execnz .LBB2_1486
; %bb.1487:                             ;   in Loop: Header=BB2_1266 Depth=1
	s_or_b32 exec_lo, exec_lo, s9
.LBB2_1488:                             ;   in Loop: Header=BB2_1266 Depth=1
	s_delay_alu instid0(SALU_CYCLE_1)
	s_or_b32 exec_lo, exec_lo, s8
.LBB2_1489:                             ;   in Loop: Header=BB2_1266 Depth=1
	s_delay_alu instid0(SALU_CYCLE_1)
	s_or_b32 exec_lo, exec_lo, s3
	s_clause 0x1
	global_load_b64 v[20:21], v1, s[20:21] offset:40
	global_load_b128 v[16:19], v1, s[20:21]
	v_readfirstlane_b32 s8, v14
	v_readfirstlane_b32 s9, v15
	s_mov_b32 s3, exec_lo
	s_wait_loadcnt 0x1
	v_and_b32_e32 v14, s8, v20
	v_and_b32_e32 v15, s9, v21
	s_delay_alu instid0(VALU_DEP_1) | instskip(SKIP_1) | instid1(VALU_DEP_1)
	v_mul_u64_e32 v[20:21], 24, v[14:15]
	s_wait_loadcnt 0x0
	v_add_nc_u64_e32 v[20:21], v[16:17], v[20:21]
	s_wait_xcnt 0x0
	s_and_saveexec_b32 s10, s2
	s_cbranch_execz .LBB2_1491
; %bb.1490:                             ;   in Loop: Header=BB2_1266 Depth=1
	v_mov_b32_e32 v0, s3
	global_store_b128 v[20:21], v[0:3], off offset:8
.LBB2_1491:                             ;   in Loop: Header=BB2_1266 Depth=1
	s_wait_xcnt 0x0
	s_or_b32 exec_lo, exec_lo, s10
	v_lshlrev_b64_e32 v[14:15], 12, v[14:15]
	v_mov_b64_e32 v[24:25], s[6:7]
	v_mov_b64_e32 v[22:23], s[4:5]
	v_and_or_b32 v12, 0xffffff1f, v12, 32
	s_delay_alu instid0(VALU_DEP_4) | instskip(SKIP_1) | instid1(VALU_DEP_2)
	v_add_nc_u64_e32 v[18:19], v[18:19], v[14:15]
	v_dual_mov_b32 v14, v1 :: v_dual_mov_b32 v15, v1
	v_readfirstlane_b32 s10, v18
	s_delay_alu instid0(VALU_DEP_3)
	v_readfirstlane_b32 s11, v19
	s_clause 0x3
	global_store_b128 v38, v[12:15], s[10:11]
	global_store_b128 v38, v[22:25], s[10:11] offset:16
	global_store_b128 v38, v[22:25], s[10:11] offset:32
	;; [unrolled: 1-line block ×3, first 2 shown]
	s_wait_xcnt 0x0
	s_and_saveexec_b32 s3, s2
	s_cbranch_execz .LBB2_1499
; %bb.1492:                             ;   in Loop: Header=BB2_1266 Depth=1
	s_clause 0x1
	global_load_b64 v[24:25], v1, s[20:21] offset:32 scope:SCOPE_SYS
	global_load_b64 v[12:13], v1, s[20:21] offset:40
	s_mov_b32 s10, exec_lo
	v_dual_mov_b32 v22, s8 :: v_dual_mov_b32 v23, s9
	s_wait_loadcnt 0x0
	v_and_b32_e32 v13, s9, v13
	v_and_b32_e32 v12, s8, v12
	s_delay_alu instid0(VALU_DEP_1) | instskip(NEXT) | instid1(VALU_DEP_1)
	v_mul_u64_e32 v[12:13], 24, v[12:13]
	v_add_nc_u64_e32 v[16:17], v[16:17], v[12:13]
	global_store_b64 v[16:17], v[24:25], off
	global_wb scope:SCOPE_SYS
	s_wait_storecnt 0x0
	s_wait_xcnt 0x0
	global_atomic_cmpswap_b64 v[14:15], v1, v[22:25], s[20:21] offset:32 th:TH_ATOMIC_RETURN scope:SCOPE_SYS
	s_wait_loadcnt 0x0
	v_cmpx_ne_u64_e64 v[14:15], v[24:25]
	s_cbranch_execz .LBB2_1495
; %bb.1493:                             ;   in Loop: Header=BB2_1266 Depth=1
	s_mov_b32 s11, 0
.LBB2_1494:                             ;   Parent Loop BB2_1266 Depth=1
                                        ; =>  This Inner Loop Header: Depth=2
	v_dual_mov_b32 v12, s8 :: v_dual_mov_b32 v13, s9
	s_sleep 1
	global_store_b64 v[16:17], v[14:15], off
	global_wb scope:SCOPE_SYS
	s_wait_storecnt 0x0
	s_wait_xcnt 0x0
	global_atomic_cmpswap_b64 v[12:13], v1, v[12:15], s[20:21] offset:32 th:TH_ATOMIC_RETURN scope:SCOPE_SYS
	s_wait_loadcnt 0x0
	v_cmp_eq_u64_e32 vcc_lo, v[12:13], v[14:15]
	v_mov_b64_e32 v[14:15], v[12:13]
	s_or_b32 s11, vcc_lo, s11
	s_delay_alu instid0(SALU_CYCLE_1)
	s_and_not1_b32 exec_lo, exec_lo, s11
	s_cbranch_execnz .LBB2_1494
.LBB2_1495:                             ;   in Loop: Header=BB2_1266 Depth=1
	s_or_b32 exec_lo, exec_lo, s10
	global_load_b64 v[12:13], v1, s[20:21] offset:16
	s_mov_b32 s11, exec_lo
	s_mov_b32 s10, exec_lo
	v_mbcnt_lo_u32_b32 v0, s11, 0
	s_wait_xcnt 0x0
	s_delay_alu instid0(VALU_DEP_1)
	v_cmpx_eq_u32_e32 0, v0
	s_cbranch_execz .LBB2_1497
; %bb.1496:                             ;   in Loop: Header=BB2_1266 Depth=1
	s_bcnt1_i32_b32 s11, s11
	s_delay_alu instid0(SALU_CYCLE_1)
	v_mov_b32_e32 v0, s11
	global_wb scope:SCOPE_SYS
	s_wait_loadcnt 0x0
	s_wait_storecnt 0x0
	global_atomic_add_u64 v[12:13], v[0:1], off offset:8 scope:SCOPE_SYS
.LBB2_1497:                             ;   in Loop: Header=BB2_1266 Depth=1
	s_wait_xcnt 0x0
	s_or_b32 exec_lo, exec_lo, s10
	s_wait_loadcnt 0x0
	global_load_b64 v[14:15], v[12:13], off offset:16
	s_wait_loadcnt 0x0
	v_cmp_eq_u64_e32 vcc_lo, 0, v[14:15]
	s_cbranch_vccnz .LBB2_1499
; %bb.1498:                             ;   in Loop: Header=BB2_1266 Depth=1
	global_load_b32 v0, v[12:13], off offset:24
	s_wait_loadcnt 0x0
	v_readfirstlane_b32 s10, v0
	global_wb scope:SCOPE_SYS
	s_wait_storecnt 0x0
	s_wait_xcnt 0x0
	global_store_b64 v[14:15], v[0:1], off scope:SCOPE_SYS
	s_and_b32 m0, s10, 0xffffff
	s_sendmsg sendmsg(MSG_INTERRUPT)
.LBB2_1499:                             ;   in Loop: Header=BB2_1266 Depth=1
	s_wait_xcnt 0x0
	s_or_b32 exec_lo, exec_lo, s3
	v_mov_b32_e32 v39, v1
	s_delay_alu instid0(VALU_DEP_1)
	v_add_nc_u64_e32 v[12:13], v[18:19], v[38:39]
	s_branch .LBB2_1503
.LBB2_1500:                             ;   in Loop: Header=BB2_1503 Depth=2
	s_wait_xcnt 0x0
	s_or_b32 exec_lo, exec_lo, s3
	s_delay_alu instid0(VALU_DEP_1)
	v_readfirstlane_b32 s3, v0
	s_cmp_eq_u32 s3, 0
	s_cbranch_scc1 .LBB2_1502
; %bb.1501:                             ;   in Loop: Header=BB2_1503 Depth=2
	s_sleep 1
	s_cbranch_execnz .LBB2_1503
	s_branch .LBB2_1505
.LBB2_1502:                             ;   in Loop: Header=BB2_1266 Depth=1
	s_branch .LBB2_1505
.LBB2_1503:                             ;   Parent Loop BB2_1266 Depth=1
                                        ; =>  This Inner Loop Header: Depth=2
	v_mov_b32_e32 v0, 1
	s_and_saveexec_b32 s3, s2
	s_cbranch_execz .LBB2_1500
; %bb.1504:                             ;   in Loop: Header=BB2_1503 Depth=2
	global_load_b32 v0, v[20:21], off offset:20 scope:SCOPE_SYS
	s_wait_loadcnt 0x0
	global_inv scope:SCOPE_SYS
	v_and_b32_e32 v0, 1, v0
	s_branch .LBB2_1500
.LBB2_1505:                             ;   in Loop: Header=BB2_1266 Depth=1
	global_load_b64 v[14:15], v[12:13], off
	s_wait_xcnt 0x0
	s_and_saveexec_b32 s10, s2
	s_cbranch_execz .LBB2_1509
; %bb.1506:                             ;   in Loop: Header=BB2_1266 Depth=1
	s_clause 0x2
	global_load_b64 v[12:13], v1, s[20:21] offset:40
	global_load_b64 v[20:21], v1, s[20:21] offset:24 scope:SCOPE_SYS
	global_load_b64 v[16:17], v1, s[20:21]
	s_wait_loadcnt 0x2
	v_readfirstlane_b32 s26, v12
	v_readfirstlane_b32 s27, v13
	s_add_nc_u64 s[2:3], s[26:27], 1
	s_delay_alu instid0(SALU_CYCLE_1) | instskip(NEXT) | instid1(SALU_CYCLE_1)
	s_add_nc_u64 s[8:9], s[2:3], s[8:9]
	s_cmp_eq_u64 s[8:9], 0
	s_cselect_b32 s3, s3, s9
	s_cselect_b32 s2, s2, s8
	s_delay_alu instid0(SALU_CYCLE_1) | instskip(SKIP_1) | instid1(SALU_CYCLE_1)
	v_dual_mov_b32 v19, s3 :: v_dual_mov_b32 v18, s2
	s_and_b64 s[8:9], s[2:3], s[26:27]
	s_mul_u64 s[8:9], s[8:9], 24
	s_wait_loadcnt 0x0
	v_add_nc_u64_e32 v[12:13], s[8:9], v[16:17]
	global_store_b64 v[12:13], v[20:21], off
	global_wb scope:SCOPE_SYS
	s_wait_storecnt 0x0
	s_wait_xcnt 0x0
	global_atomic_cmpswap_b64 v[18:19], v1, v[18:21], s[20:21] offset:24 th:TH_ATOMIC_RETURN scope:SCOPE_SYS
	s_wait_loadcnt 0x0
	v_cmp_ne_u64_e32 vcc_lo, v[18:19], v[20:21]
	s_and_b32 exec_lo, exec_lo, vcc_lo
	s_cbranch_execz .LBB2_1509
; %bb.1507:                             ;   in Loop: Header=BB2_1266 Depth=1
	s_mov_b32 s8, 0
.LBB2_1508:                             ;   Parent Loop BB2_1266 Depth=1
                                        ; =>  This Inner Loop Header: Depth=2
	v_dual_mov_b32 v16, s2 :: v_dual_mov_b32 v17, s3
	s_sleep 1
	global_store_b64 v[12:13], v[18:19], off
	global_wb scope:SCOPE_SYS
	s_wait_storecnt 0x0
	s_wait_xcnt 0x0
	global_atomic_cmpswap_b64 v[16:17], v1, v[16:19], s[20:21] offset:24 th:TH_ATOMIC_RETURN scope:SCOPE_SYS
	s_wait_loadcnt 0x0
	v_cmp_eq_u64_e32 vcc_lo, v[16:17], v[18:19]
	v_mov_b64_e32 v[18:19], v[16:17]
	s_or_b32 s8, vcc_lo, s8
	s_delay_alu instid0(SALU_CYCLE_1)
	s_and_not1_b32 exec_lo, exec_lo, s8
	s_cbranch_execnz .LBB2_1508
.LBB2_1509:                             ;   in Loop: Header=BB2_1266 Depth=1
	s_or_b32 exec_lo, exec_lo, s10
.LBB2_1510:                             ;   in Loop: Header=BB2_1266 Depth=1
	v_readfirstlane_b32 s2, v46
	s_wait_loadcnt 0x0
	v_mov_b64_e32 v[12:13], 0
	s_delay_alu instid0(VALU_DEP_2)
	v_cmp_eq_u32_e64 s2, s2, v46
	s_and_saveexec_b32 s3, s2
	s_cbranch_execz .LBB2_1516
; %bb.1511:                             ;   in Loop: Header=BB2_1266 Depth=1
	global_load_b64 v[18:19], v1, s[20:21] offset:24 scope:SCOPE_SYS
	s_wait_loadcnt 0x0
	global_inv scope:SCOPE_SYS
	s_clause 0x1
	global_load_b64 v[12:13], v1, s[20:21] offset:40
	global_load_b64 v[16:17], v1, s[20:21]
	s_mov_b32 s8, exec_lo
	s_wait_loadcnt 0x1
	v_and_b32_e32 v12, v12, v18
	v_and_b32_e32 v13, v13, v19
	s_delay_alu instid0(VALU_DEP_1) | instskip(SKIP_1) | instid1(VALU_DEP_1)
	v_mul_u64_e32 v[12:13], 24, v[12:13]
	s_wait_loadcnt 0x0
	v_add_nc_u64_e32 v[12:13], v[16:17], v[12:13]
	global_load_b64 v[16:17], v[12:13], off scope:SCOPE_SYS
	s_wait_xcnt 0x0
	s_wait_loadcnt 0x0
	global_atomic_cmpswap_b64 v[12:13], v1, v[16:19], s[20:21] offset:24 th:TH_ATOMIC_RETURN scope:SCOPE_SYS
	s_wait_loadcnt 0x0
	global_inv scope:SCOPE_SYS
	s_wait_xcnt 0x0
	v_cmpx_ne_u64_e64 v[12:13], v[18:19]
	s_cbranch_execz .LBB2_1515
; %bb.1512:                             ;   in Loop: Header=BB2_1266 Depth=1
	s_mov_b32 s9, 0
.LBB2_1513:                             ;   Parent Loop BB2_1266 Depth=1
                                        ; =>  This Inner Loop Header: Depth=2
	s_sleep 1
	s_clause 0x1
	global_load_b64 v[16:17], v1, s[20:21] offset:40
	global_load_b64 v[20:21], v1, s[20:21]
	v_mov_b64_e32 v[18:19], v[12:13]
	s_wait_loadcnt 0x1
	s_delay_alu instid0(VALU_DEP_1) | instskip(SKIP_1) | instid1(VALU_DEP_1)
	v_and_b32_e32 v0, v16, v18
	s_wait_loadcnt 0x0
	v_mad_nc_u64_u32 v[12:13], v0, 24, v[20:21]
	s_delay_alu instid0(VALU_DEP_3) | instskip(NEXT) | instid1(VALU_DEP_1)
	v_and_b32_e32 v0, v17, v19
	v_mad_u32 v13, v0, 24, v13
	global_load_b64 v[16:17], v[12:13], off scope:SCOPE_SYS
	s_wait_xcnt 0x0
	s_wait_loadcnt 0x0
	global_atomic_cmpswap_b64 v[12:13], v1, v[16:19], s[20:21] offset:24 th:TH_ATOMIC_RETURN scope:SCOPE_SYS
	s_wait_loadcnt 0x0
	global_inv scope:SCOPE_SYS
	v_cmp_eq_u64_e32 vcc_lo, v[12:13], v[18:19]
	s_or_b32 s9, vcc_lo, s9
	s_wait_xcnt 0x0
	s_and_not1_b32 exec_lo, exec_lo, s9
	s_cbranch_execnz .LBB2_1513
; %bb.1514:                             ;   in Loop: Header=BB2_1266 Depth=1
	s_or_b32 exec_lo, exec_lo, s9
.LBB2_1515:                             ;   in Loop: Header=BB2_1266 Depth=1
	s_delay_alu instid0(SALU_CYCLE_1)
	s_or_b32 exec_lo, exec_lo, s8
.LBB2_1516:                             ;   in Loop: Header=BB2_1266 Depth=1
	s_delay_alu instid0(SALU_CYCLE_1)
	s_or_b32 exec_lo, exec_lo, s3
	s_clause 0x1
	global_load_b64 v[16:17], v1, s[20:21] offset:40
	global_load_b128 v[18:21], v1, s[20:21]
	v_readfirstlane_b32 s8, v12
	v_readfirstlane_b32 s9, v13
	s_mov_b32 s3, exec_lo
	s_wait_loadcnt 0x1
	v_and_b32_e32 v12, s8, v16
	v_and_b32_e32 v13, s9, v17
	s_delay_alu instid0(VALU_DEP_1) | instskip(SKIP_1) | instid1(VALU_DEP_1)
	v_mul_u64_e32 v[16:17], 24, v[12:13]
	s_wait_loadcnt 0x0
	v_add_nc_u64_e32 v[22:23], v[18:19], v[16:17]
	s_wait_xcnt 0x0
	s_and_saveexec_b32 s10, s2
	s_cbranch_execz .LBB2_1518
; %bb.1517:                             ;   in Loop: Header=BB2_1266 Depth=1
	v_mov_b32_e32 v0, s3
	global_store_b128 v[22:23], v[0:3], off offset:8
.LBB2_1518:                             ;   in Loop: Header=BB2_1266 Depth=1
	s_wait_xcnt 0x0
	s_or_b32 exec_lo, exec_lo, s10
	v_lshlrev_b64_e32 v[12:13], 12, v[12:13]
	s_ashr_i32 s3, s33, 1
	v_mov_b64_e32 v[26:27], s[6:7]
	v_mov_b64_e32 v[24:25], s[4:5]
	v_and_or_b32 v14, 0xffffff1d, v14, 34
	v_dual_mov_b32 v17, v1 :: v_dual_mov_b32 v16, s3
	v_add_nc_u64_e32 v[12:13], v[20:21], v[12:13]
	s_delay_alu instid0(VALU_DEP_1) | instskip(NEXT) | instid1(VALU_DEP_2)
	v_readfirstlane_b32 s10, v12
	v_readfirstlane_b32 s11, v13
	s_clause 0x3
	global_store_b128 v38, v[14:17], s[10:11]
	global_store_b128 v38, v[24:27], s[10:11] offset:16
	global_store_b128 v38, v[24:27], s[10:11] offset:32
	;; [unrolled: 1-line block ×3, first 2 shown]
	s_wait_xcnt 0x0
	s_and_saveexec_b32 s3, s2
	s_cbranch_execz .LBB2_1526
; %bb.1519:                             ;   in Loop: Header=BB2_1266 Depth=1
	s_clause 0x1
	global_load_b64 v[20:21], v1, s[20:21] offset:32 scope:SCOPE_SYS
	global_load_b64 v[12:13], v1, s[20:21] offset:40
	s_mov_b32 s10, exec_lo
	s_wait_loadcnt 0x0
	v_and_b32_e32 v12, s8, v12
	v_and_b32_e32 v13, s9, v13
	s_delay_alu instid0(VALU_DEP_1) | instskip(NEXT) | instid1(VALU_DEP_1)
	v_mul_u64_e32 v[12:13], 24, v[12:13]
	v_add_nc_u64_e32 v[16:17], v[18:19], v[12:13]
	v_dual_mov_b32 v18, s8 :: v_dual_mov_b32 v19, s9
	global_store_b64 v[16:17], v[20:21], off
	global_wb scope:SCOPE_SYS
	s_wait_storecnt 0x0
	s_wait_xcnt 0x0
	global_atomic_cmpswap_b64 v[14:15], v1, v[18:21], s[20:21] offset:32 th:TH_ATOMIC_RETURN scope:SCOPE_SYS
	s_wait_loadcnt 0x0
	v_cmpx_ne_u64_e64 v[14:15], v[20:21]
	s_cbranch_execz .LBB2_1522
; %bb.1520:                             ;   in Loop: Header=BB2_1266 Depth=1
	s_mov_b32 s11, 0
.LBB2_1521:                             ;   Parent Loop BB2_1266 Depth=1
                                        ; =>  This Inner Loop Header: Depth=2
	v_dual_mov_b32 v12, s8 :: v_dual_mov_b32 v13, s9
	s_sleep 1
	global_store_b64 v[16:17], v[14:15], off
	global_wb scope:SCOPE_SYS
	s_wait_storecnt 0x0
	s_wait_xcnt 0x0
	global_atomic_cmpswap_b64 v[12:13], v1, v[12:15], s[20:21] offset:32 th:TH_ATOMIC_RETURN scope:SCOPE_SYS
	s_wait_loadcnt 0x0
	v_cmp_eq_u64_e32 vcc_lo, v[12:13], v[14:15]
	v_mov_b64_e32 v[14:15], v[12:13]
	s_or_b32 s11, vcc_lo, s11
	s_delay_alu instid0(SALU_CYCLE_1)
	s_and_not1_b32 exec_lo, exec_lo, s11
	s_cbranch_execnz .LBB2_1521
.LBB2_1522:                             ;   in Loop: Header=BB2_1266 Depth=1
	s_or_b32 exec_lo, exec_lo, s10
	global_load_b64 v[12:13], v1, s[20:21] offset:16
	s_mov_b32 s11, exec_lo
	s_mov_b32 s10, exec_lo
	v_mbcnt_lo_u32_b32 v0, s11, 0
	s_wait_xcnt 0x0
	s_delay_alu instid0(VALU_DEP_1)
	v_cmpx_eq_u32_e32 0, v0
	s_cbranch_execz .LBB2_1524
; %bb.1523:                             ;   in Loop: Header=BB2_1266 Depth=1
	s_bcnt1_i32_b32 s11, s11
	s_delay_alu instid0(SALU_CYCLE_1)
	v_mov_b32_e32 v0, s11
	global_wb scope:SCOPE_SYS
	s_wait_loadcnt 0x0
	s_wait_storecnt 0x0
	global_atomic_add_u64 v[12:13], v[0:1], off offset:8 scope:SCOPE_SYS
.LBB2_1524:                             ;   in Loop: Header=BB2_1266 Depth=1
	s_wait_xcnt 0x0
	s_or_b32 exec_lo, exec_lo, s10
	s_wait_loadcnt 0x0
	global_load_b64 v[14:15], v[12:13], off offset:16
	s_wait_loadcnt 0x0
	v_cmp_eq_u64_e32 vcc_lo, 0, v[14:15]
	s_cbranch_vccnz .LBB2_1526
; %bb.1525:                             ;   in Loop: Header=BB2_1266 Depth=1
	global_load_b32 v0, v[12:13], off offset:24
	s_wait_loadcnt 0x0
	v_readfirstlane_b32 s10, v0
	global_wb scope:SCOPE_SYS
	s_wait_storecnt 0x0
	s_wait_xcnt 0x0
	global_store_b64 v[14:15], v[0:1], off scope:SCOPE_SYS
	s_and_b32 m0, s10, 0xffffff
	s_sendmsg sendmsg(MSG_INTERRUPT)
.LBB2_1526:                             ;   in Loop: Header=BB2_1266 Depth=1
	s_wait_xcnt 0x0
	s_or_b32 exec_lo, exec_lo, s3
	s_branch .LBB2_1530
.LBB2_1527:                             ;   in Loop: Header=BB2_1530 Depth=2
	s_wait_xcnt 0x0
	s_or_b32 exec_lo, exec_lo, s3
	s_delay_alu instid0(VALU_DEP_1)
	v_readfirstlane_b32 s3, v0
	s_cmp_eq_u32 s3, 0
	s_cbranch_scc1 .LBB2_1529
; %bb.1528:                             ;   in Loop: Header=BB2_1530 Depth=2
	s_sleep 1
	s_cbranch_execnz .LBB2_1530
	s_branch .LBB2_1532
.LBB2_1529:                             ;   in Loop: Header=BB2_1266 Depth=1
	s_branch .LBB2_1532
.LBB2_1530:                             ;   Parent Loop BB2_1266 Depth=1
                                        ; =>  This Inner Loop Header: Depth=2
	v_mov_b32_e32 v0, 1
	s_and_saveexec_b32 s3, s2
	s_cbranch_execz .LBB2_1527
; %bb.1531:                             ;   in Loop: Header=BB2_1530 Depth=2
	global_load_b32 v0, v[22:23], off offset:20 scope:SCOPE_SYS
	s_wait_loadcnt 0x0
	global_inv scope:SCOPE_SYS
	v_and_b32_e32 v0, 1, v0
	s_branch .LBB2_1527
.LBB2_1532:                             ;   in Loop: Header=BB2_1266 Depth=1
	s_and_saveexec_b32 s10, s2
	s_cbranch_execz .LBB2_1265
; %bb.1533:                             ;   in Loop: Header=BB2_1266 Depth=1
	s_clause 0x2
	global_load_b64 v[12:13], v1, s[20:21] offset:40
	global_load_b64 v[20:21], v1, s[20:21] offset:24 scope:SCOPE_SYS
	global_load_b64 v[14:15], v1, s[20:21]
	s_wait_loadcnt 0x2
	v_readfirstlane_b32 s26, v12
	v_readfirstlane_b32 s27, v13
	s_add_nc_u64 s[2:3], s[26:27], 1
	s_delay_alu instid0(SALU_CYCLE_1) | instskip(NEXT) | instid1(SALU_CYCLE_1)
	s_add_nc_u64 s[8:9], s[2:3], s[8:9]
	s_cmp_eq_u64 s[8:9], 0
	s_cselect_b32 s3, s3, s9
	s_cselect_b32 s2, s2, s8
	s_delay_alu instid0(SALU_CYCLE_1) | instskip(SKIP_1) | instid1(SALU_CYCLE_1)
	v_dual_mov_b32 v19, s3 :: v_dual_mov_b32 v18, s2
	s_and_b64 s[8:9], s[2:3], s[26:27]
	s_mul_u64 s[8:9], s[8:9], 24
	s_wait_loadcnt 0x0
	v_add_nc_u64_e32 v[16:17], s[8:9], v[14:15]
	global_store_b64 v[16:17], v[20:21], off
	global_wb scope:SCOPE_SYS
	s_wait_storecnt 0x0
	s_wait_xcnt 0x0
	global_atomic_cmpswap_b64 v[14:15], v1, v[18:21], s[20:21] offset:24 th:TH_ATOMIC_RETURN scope:SCOPE_SYS
	s_wait_loadcnt 0x0
	v_cmp_ne_u64_e32 vcc_lo, v[14:15], v[20:21]
	s_and_b32 exec_lo, exec_lo, vcc_lo
	s_cbranch_execz .LBB2_1265
; %bb.1534:                             ;   in Loop: Header=BB2_1266 Depth=1
	s_mov_b32 s8, 0
.LBB2_1535:                             ;   Parent Loop BB2_1266 Depth=1
                                        ; =>  This Inner Loop Header: Depth=2
	v_dual_mov_b32 v12, s2 :: v_dual_mov_b32 v13, s3
	s_sleep 1
	global_store_b64 v[16:17], v[14:15], off
	global_wb scope:SCOPE_SYS
	s_wait_storecnt 0x0
	s_wait_xcnt 0x0
	global_atomic_cmpswap_b64 v[12:13], v1, v[12:15], s[20:21] offset:24 th:TH_ATOMIC_RETURN scope:SCOPE_SYS
	s_wait_loadcnt 0x0
	v_cmp_eq_u64_e32 vcc_lo, v[12:13], v[14:15]
	v_mov_b64_e32 v[14:15], v[12:13]
	s_or_b32 s8, vcc_lo, s8
	s_delay_alu instid0(SALU_CYCLE_1)
	s_and_not1_b32 exec_lo, exec_lo, s8
	s_cbranch_execnz .LBB2_1535
	s_branch .LBB2_1265
.LBB2_1536:
	v_readfirstlane_b32 s2, v46
	v_mov_b64_e32 v[4:5], 0
	s_delay_alu instid0(VALU_DEP_2)
	v_cmp_eq_u32_e64 s2, s2, v46
	s_and_saveexec_b32 s3, s2
	s_cbranch_execz .LBB2_1542
; %bb.1537:
	s_wait_loadcnt 0x0
	v_mov_b32_e32 v0, 0
	s_mov_b32 s4, exec_lo
	global_load_b64 v[6:7], v0, s[20:21] offset:24 scope:SCOPE_SYS
	s_wait_loadcnt 0x0
	global_inv scope:SCOPE_SYS
	s_clause 0x1
	global_load_b64 v[2:3], v0, s[20:21] offset:40
	global_load_b64 v[4:5], v0, s[20:21]
	s_wait_loadcnt 0x1
	v_and_b32_e32 v2, v2, v6
	v_and_b32_e32 v3, v3, v7
	s_delay_alu instid0(VALU_DEP_1) | instskip(SKIP_1) | instid1(VALU_DEP_1)
	v_mul_u64_e32 v[2:3], 24, v[2:3]
	s_wait_loadcnt 0x0
	v_add_nc_u64_e32 v[2:3], v[4:5], v[2:3]
	global_load_b64 v[4:5], v[2:3], off scope:SCOPE_SYS
	s_wait_xcnt 0x0
	s_wait_loadcnt 0x0
	global_atomic_cmpswap_b64 v[4:5], v0, v[4:7], s[20:21] offset:24 th:TH_ATOMIC_RETURN scope:SCOPE_SYS
	s_wait_loadcnt 0x0
	global_inv scope:SCOPE_SYS
	s_wait_xcnt 0x0
	v_cmpx_ne_u64_e64 v[4:5], v[6:7]
	s_cbranch_execz .LBB2_1541
; %bb.1538:
	s_mov_b32 s5, 0
.LBB2_1539:                             ; =>This Inner Loop Header: Depth=1
	s_sleep 1
	s_clause 0x1
	global_load_b64 v[2:3], v0, s[20:21] offset:40
	global_load_b64 v[8:9], v0, s[20:21]
	v_mov_b64_e32 v[6:7], v[4:5]
	s_wait_loadcnt 0x1
	s_delay_alu instid0(VALU_DEP_1) | instskip(SKIP_1) | instid1(VALU_DEP_1)
	v_and_b32_e32 v1, v2, v6
	s_wait_loadcnt 0x0
	v_mad_nc_u64_u32 v[4:5], v1, 24, v[8:9]
	s_delay_alu instid0(VALU_DEP_3) | instskip(NEXT) | instid1(VALU_DEP_1)
	v_and_b32_e32 v1, v3, v7
	v_mad_u32 v5, v1, 24, v5
	global_load_b64 v[4:5], v[4:5], off scope:SCOPE_SYS
	s_wait_xcnt 0x0
	s_wait_loadcnt 0x0
	global_atomic_cmpswap_b64 v[4:5], v0, v[4:7], s[20:21] offset:24 th:TH_ATOMIC_RETURN scope:SCOPE_SYS
	s_wait_loadcnt 0x0
	global_inv scope:SCOPE_SYS
	v_cmp_eq_u64_e32 vcc_lo, v[4:5], v[6:7]
	s_or_b32 s5, vcc_lo, s5
	s_wait_xcnt 0x0
	s_and_not1_b32 exec_lo, exec_lo, s5
	s_cbranch_execnz .LBB2_1539
; %bb.1540:
	s_or_b32 exec_lo, exec_lo, s5
.LBB2_1541:
	s_delay_alu instid0(SALU_CYCLE_1)
	s_or_b32 exec_lo, exec_lo, s4
.LBB2_1542:
	s_delay_alu instid0(SALU_CYCLE_1)
	s_or_b32 exec_lo, exec_lo, s3
	v_readfirstlane_b32 s4, v4
	v_mov_b32_e32 v39, 0
	v_readfirstlane_b32 s5, v5
	s_mov_b32 s3, exec_lo
	s_wait_loadcnt 0x0
	s_clause 0x1
	global_load_b64 v[6:7], v39, s[20:21] offset:40
	global_load_b128 v[0:3], v39, s[20:21]
	s_wait_loadcnt 0x1
	v_and_b32_e32 v6, s4, v6
	v_and_b32_e32 v7, s5, v7
	s_delay_alu instid0(VALU_DEP_1) | instskip(SKIP_1) | instid1(VALU_DEP_1)
	v_mul_u64_e32 v[4:5], 24, v[6:7]
	s_wait_loadcnt 0x0
	v_add_nc_u64_e32 v[4:5], v[0:1], v[4:5]
	s_wait_xcnt 0x0
	s_and_saveexec_b32 s6, s2
	s_cbranch_execz .LBB2_1544
; %bb.1543:
	v_mov_b64_e32 v[10:11], 0x100000002
	v_dual_mov_b32 v8, s3 :: v_dual_mov_b32 v9, v39
	global_store_b128 v[4:5], v[8:11], off offset:8
.LBB2_1544:
	s_wait_xcnt 0x0
	s_or_b32 exec_lo, exec_lo, s6
	v_lshlrev_b64_e32 v[6:7], 12, v[6:7]
	s_mov_b32 s8, 0
	v_dual_mov_b32 v8, 33 :: v_dual_mov_b32 v9, v39
	s_mov_b32 s10, s8
	s_mov_b32 s11, s8
	;; [unrolled: 1-line block ×3, first 2 shown]
	s_delay_alu instid0(VALU_DEP_2) | instskip(SKIP_3) | instid1(VALU_DEP_4)
	v_add_nc_u64_e32 v[6:7], v[2:3], v[6:7]
	v_mov_b64_e32 v[14:15], s[10:11]
	v_mov_b64_e32 v[12:13], s[8:9]
	v_dual_mov_b32 v10, v39 :: v_dual_mov_b32 v11, v39
	v_readfirstlane_b32 s6, v6
	v_readfirstlane_b32 s7, v7
	s_clause 0x3
	global_store_b128 v38, v[8:11], s[6:7]
	global_store_b128 v38, v[12:15], s[6:7] offset:16
	global_store_b128 v38, v[12:15], s[6:7] offset:32
	global_store_b128 v38, v[12:15], s[6:7] offset:48
	s_wait_xcnt 0x0
	s_and_saveexec_b32 s3, s2
	s_cbranch_execz .LBB2_1552
; %bb.1545:
	v_dual_mov_b32 v10, 0 :: v_dual_mov_b32 v13, s5
	s_mov_b32 s6, exec_lo
	s_clause 0x1
	global_load_b64 v[14:15], v10, s[20:21] offset:32 scope:SCOPE_SYS
	global_load_b64 v[2:3], v10, s[20:21] offset:40
	s_wait_loadcnt 0x0
	v_dual_mov_b32 v12, s4 :: v_dual_bitop2_b32 v3, s5, v3 bitop3:0x40
	v_and_b32_e32 v2, s4, v2
	s_delay_alu instid0(VALU_DEP_1) | instskip(NEXT) | instid1(VALU_DEP_1)
	v_mul_u64_e32 v[2:3], 24, v[2:3]
	v_add_nc_u64_e32 v[8:9], v[0:1], v[2:3]
	global_store_b64 v[8:9], v[14:15], off
	global_wb scope:SCOPE_SYS
	s_wait_storecnt 0x0
	s_wait_xcnt 0x0
	global_atomic_cmpswap_b64 v[2:3], v10, v[12:15], s[20:21] offset:32 th:TH_ATOMIC_RETURN scope:SCOPE_SYS
	s_wait_loadcnt 0x0
	v_cmpx_ne_u64_e64 v[2:3], v[14:15]
	s_cbranch_execz .LBB2_1548
; %bb.1546:
	s_mov_b32 s7, 0
.LBB2_1547:                             ; =>This Inner Loop Header: Depth=1
	v_dual_mov_b32 v0, s4 :: v_dual_mov_b32 v1, s5
	s_sleep 1
	global_store_b64 v[8:9], v[2:3], off
	global_wb scope:SCOPE_SYS
	s_wait_storecnt 0x0
	s_wait_xcnt 0x0
	global_atomic_cmpswap_b64 v[0:1], v10, v[0:3], s[20:21] offset:32 th:TH_ATOMIC_RETURN scope:SCOPE_SYS
	s_wait_loadcnt 0x0
	v_cmp_eq_u64_e32 vcc_lo, v[0:1], v[2:3]
	v_mov_b64_e32 v[2:3], v[0:1]
	s_or_b32 s7, vcc_lo, s7
	s_delay_alu instid0(SALU_CYCLE_1)
	s_and_not1_b32 exec_lo, exec_lo, s7
	s_cbranch_execnz .LBB2_1547
.LBB2_1548:
	s_or_b32 exec_lo, exec_lo, s6
	v_mov_b32_e32 v3, 0
	s_mov_b32 s7, exec_lo
	s_mov_b32 s6, exec_lo
	v_mbcnt_lo_u32_b32 v2, s7, 0
	global_load_b64 v[0:1], v3, s[20:21] offset:16
	s_wait_xcnt 0x0
	v_cmpx_eq_u32_e32 0, v2
	s_cbranch_execz .LBB2_1550
; %bb.1549:
	s_bcnt1_i32_b32 s7, s7
	s_delay_alu instid0(SALU_CYCLE_1)
	v_mov_b32_e32 v2, s7
	global_wb scope:SCOPE_SYS
	s_wait_loadcnt 0x0
	s_wait_storecnt 0x0
	global_atomic_add_u64 v[0:1], v[2:3], off offset:8 scope:SCOPE_SYS
.LBB2_1550:
	s_wait_xcnt 0x0
	s_or_b32 exec_lo, exec_lo, s6
	s_wait_loadcnt 0x0
	global_load_b64 v[2:3], v[0:1], off offset:16
	s_wait_loadcnt 0x0
	v_cmp_eq_u64_e32 vcc_lo, 0, v[2:3]
	s_cbranch_vccnz .LBB2_1552
; %bb.1551:
	global_load_b32 v0, v[0:1], off offset:24
	s_wait_xcnt 0x0
	v_mov_b32_e32 v1, 0
	s_wait_loadcnt 0x0
	v_readfirstlane_b32 s6, v0
	global_wb scope:SCOPE_SYS
	s_wait_storecnt 0x0
	global_store_b64 v[2:3], v[0:1], off scope:SCOPE_SYS
	s_and_b32 m0, s6, 0xffffff
	s_sendmsg sendmsg(MSG_INTERRUPT)
.LBB2_1552:
	s_wait_xcnt 0x0
	s_or_b32 exec_lo, exec_lo, s3
	v_add_nc_u64_e32 v[0:1], v[6:7], v[38:39]
	s_branch .LBB2_1556
.LBB2_1553:                             ;   in Loop: Header=BB2_1556 Depth=1
	s_wait_xcnt 0x0
	s_or_b32 exec_lo, exec_lo, s3
	s_delay_alu instid0(VALU_DEP_1)
	v_readfirstlane_b32 s3, v2
	s_cmp_eq_u32 s3, 0
	s_cbranch_scc1 .LBB2_1555
; %bb.1554:                             ;   in Loop: Header=BB2_1556 Depth=1
	s_sleep 1
	s_cbranch_execnz .LBB2_1556
	s_branch .LBB2_1558
.LBB2_1555:
	s_branch .LBB2_1558
.LBB2_1556:                             ; =>This Inner Loop Header: Depth=1
	v_mov_b32_e32 v2, 1
	s_and_saveexec_b32 s3, s2
	s_cbranch_execz .LBB2_1553
; %bb.1557:                             ;   in Loop: Header=BB2_1556 Depth=1
	global_load_b32 v2, v[4:5], off offset:20 scope:SCOPE_SYS
	s_wait_loadcnt 0x0
	global_inv scope:SCOPE_SYS
	v_and_b32_e32 v2, 1, v2
	s_branch .LBB2_1553
.LBB2_1558:
	global_load_b64 v[0:1], v[0:1], off
	s_wait_xcnt 0x0
	s_and_saveexec_b32 s6, s2
	s_cbranch_execz .LBB2_1562
; %bb.1559:
	v_mov_b32_e32 v8, 0
	s_clause 0x2
	global_load_b64 v[2:3], v8, s[20:21] offset:40
	global_load_b64 v[12:13], v8, s[20:21] offset:24 scope:SCOPE_SYS
	global_load_b64 v[4:5], v8, s[20:21]
	s_wait_loadcnt 0x2
	v_readfirstlane_b32 s8, v2
	v_readfirstlane_b32 s9, v3
	s_add_nc_u64 s[2:3], s[8:9], 1
	s_delay_alu instid0(SALU_CYCLE_1) | instskip(NEXT) | instid1(SALU_CYCLE_1)
	s_add_nc_u64 s[4:5], s[2:3], s[4:5]
	s_cmp_eq_u64 s[4:5], 0
	s_cselect_b32 s3, s3, s5
	s_cselect_b32 s2, s2, s4
	v_mov_b32_e32 v11, s3
	s_and_b64 s[4:5], s[2:3], s[8:9]
	v_mov_b32_e32 v10, s2
	s_mul_u64 s[4:5], s[4:5], 24
	s_wait_loadcnt 0x0
	v_add_nc_u64_e32 v[6:7], s[4:5], v[4:5]
	global_store_b64 v[6:7], v[12:13], off
	global_wb scope:SCOPE_SYS
	s_wait_storecnt 0x0
	s_wait_xcnt 0x0
	global_atomic_cmpswap_b64 v[4:5], v8, v[10:13], s[20:21] offset:24 th:TH_ATOMIC_RETURN scope:SCOPE_SYS
	s_wait_loadcnt 0x0
	v_cmp_ne_u64_e32 vcc_lo, v[4:5], v[12:13]
	s_and_b32 exec_lo, exec_lo, vcc_lo
	s_cbranch_execz .LBB2_1562
; %bb.1560:
	s_mov_b32 s4, 0
.LBB2_1561:                             ; =>This Inner Loop Header: Depth=1
	v_dual_mov_b32 v2, s2 :: v_dual_mov_b32 v3, s3
	s_sleep 1
	global_store_b64 v[6:7], v[4:5], off
	global_wb scope:SCOPE_SYS
	s_wait_storecnt 0x0
	s_wait_xcnt 0x0
	global_atomic_cmpswap_b64 v[2:3], v8, v[2:5], s[20:21] offset:24 th:TH_ATOMIC_RETURN scope:SCOPE_SYS
	s_wait_loadcnt 0x0
	v_cmp_eq_u64_e32 vcc_lo, v[2:3], v[4:5]
	v_mov_b64_e32 v[4:5], v[2:3]
	s_or_b32 s4, vcc_lo, s4
	s_delay_alu instid0(SALU_CYCLE_1)
	s_and_not1_b32 exec_lo, exec_lo, s4
	s_cbranch_execnz .LBB2_1561
.LBB2_1562:
	s_or_b32 exec_lo, exec_lo, s6
	s_get_pc_i64 s[2:3]
	s_add_nc_u64 s[2:3], s[2:3], .str.9@rel64+4
	s_add_nc_u64 s[14:15], s[0:1], 40
	s_cmp_lg_u64 s[2:3], 0
	v_dual_mov_b32 v2, s2 :: v_dual_mov_b32 v3, s3
	s_cselect_b32 s0, 13, 0
	s_delay_alu instid0(SALU_CYCLE_1)
	v_dual_mov_b32 v5, 0 :: v_dual_mov_b32 v4, s0
	v_mov_b32_e32 v6, 0
	s_get_pc_i64 s[18:19]
	s_add_nc_u64 s[18:19], s[18:19], __ockl_printf_append_string_n@rel64+4
	s_mov_b64 s[8:9], s[14:15]
	s_swap_pc_i64 s[30:31], s[18:19]
	v_readfirstlane_b32 s0, v46
	v_mov_b64_e32 v[8:9], 0
	s_delay_alu instid0(VALU_DEP_2)
	v_cmp_eq_u32_e64 s0, s0, v46
	s_and_saveexec_b32 s1, s0
	s_cbranch_execz .LBB2_1568
; %bb.1563:
	v_mov_b32_e32 v2, 0
	s_mov_b32 s2, exec_lo
	global_load_b64 v[6:7], v2, s[20:21] offset:24 scope:SCOPE_SYS
	s_wait_loadcnt 0x0
	global_inv scope:SCOPE_SYS
	s_clause 0x1
	global_load_b64 v[4:5], v2, s[20:21] offset:40
	global_load_b64 v[8:9], v2, s[20:21]
	s_wait_loadcnt 0x1
	v_and_b32_e32 v4, v4, v6
	v_and_b32_e32 v5, v5, v7
	s_delay_alu instid0(VALU_DEP_1) | instskip(SKIP_1) | instid1(VALU_DEP_1)
	v_mul_u64_e32 v[4:5], 24, v[4:5]
	s_wait_loadcnt 0x0
	v_add_nc_u64_e32 v[4:5], v[8:9], v[4:5]
	global_load_b64 v[4:5], v[4:5], off scope:SCOPE_SYS
	s_wait_xcnt 0x0
	s_wait_loadcnt 0x0
	global_atomic_cmpswap_b64 v[8:9], v2, v[4:7], s[20:21] offset:24 th:TH_ATOMIC_RETURN scope:SCOPE_SYS
	s_wait_loadcnt 0x0
	global_inv scope:SCOPE_SYS
	s_wait_xcnt 0x0
	v_cmpx_ne_u64_e64 v[8:9], v[6:7]
	s_cbranch_execz .LBB2_1567
; %bb.1564:
	s_mov_b32 s3, 0
.LBB2_1565:                             ; =>This Inner Loop Header: Depth=1
	s_sleep 1
	s_clause 0x1
	global_load_b64 v[4:5], v2, s[20:21] offset:40
	global_load_b64 v[10:11], v2, s[20:21]
	v_mov_b64_e32 v[6:7], v[8:9]
	s_wait_loadcnt 0x1
	s_delay_alu instid0(VALU_DEP_1) | instskip(SKIP_1) | instid1(VALU_DEP_1)
	v_and_b32_e32 v3, v4, v6
	s_wait_loadcnt 0x0
	v_mad_nc_u64_u32 v[8:9], v3, 24, v[10:11]
	s_delay_alu instid0(VALU_DEP_3) | instskip(NEXT) | instid1(VALU_DEP_1)
	v_and_b32_e32 v3, v5, v7
	v_mad_u32 v9, v3, 24, v9
	global_load_b64 v[4:5], v[8:9], off scope:SCOPE_SYS
	s_wait_xcnt 0x0
	s_wait_loadcnt 0x0
	global_atomic_cmpswap_b64 v[8:9], v2, v[4:7], s[20:21] offset:24 th:TH_ATOMIC_RETURN scope:SCOPE_SYS
	s_wait_loadcnt 0x0
	global_inv scope:SCOPE_SYS
	v_cmp_eq_u64_e32 vcc_lo, v[8:9], v[6:7]
	s_or_b32 s3, vcc_lo, s3
	s_wait_xcnt 0x0
	s_and_not1_b32 exec_lo, exec_lo, s3
	s_cbranch_execnz .LBB2_1565
; %bb.1566:
	s_or_b32 exec_lo, exec_lo, s3
.LBB2_1567:
	s_delay_alu instid0(SALU_CYCLE_1)
	s_or_b32 exec_lo, exec_lo, s2
.LBB2_1568:
	s_delay_alu instid0(SALU_CYCLE_1)
	s_or_b32 exec_lo, exec_lo, s1
	v_readfirstlane_b32 s2, v8
	v_mov_b32_e32 v3, 0
	v_readfirstlane_b32 s3, v9
	s_mov_b32 s1, exec_lo
	s_clause 0x1
	global_load_b64 v[10:11], v3, s[20:21] offset:40
	global_load_b128 v[4:7], v3, s[20:21]
	s_wait_loadcnt 0x1
	v_and_b32_e32 v10, s2, v10
	v_and_b32_e32 v11, s3, v11
	s_delay_alu instid0(VALU_DEP_1) | instskip(SKIP_1) | instid1(VALU_DEP_1)
	v_mul_u64_e32 v[8:9], 24, v[10:11]
	s_wait_loadcnt 0x0
	v_add_nc_u64_e32 v[8:9], v[4:5], v[8:9]
	s_wait_xcnt 0x0
	s_and_saveexec_b32 s4, s0
	s_cbranch_execz .LBB2_1570
; %bb.1569:
	v_mov_b32_e32 v2, s1
	v_mov_b64_e32 v[14:15], 0x100000002
	s_delay_alu instid0(VALU_DEP_2)
	v_mov_b64_e32 v[12:13], v[2:3]
	global_store_b128 v[8:9], v[12:15], off offset:8
.LBB2_1570:
	s_wait_xcnt 0x0
	s_or_b32 exec_lo, exec_lo, s4
	v_lshlrev_b64_e32 v[10:11], 12, v[10:11]
	s_mov_b32 s4, 0
	v_and_or_b32 v0, 0xffffff1d, v0, 34
	s_mov_b32 s6, s4
	s_mov_b32 s7, s4
	;; [unrolled: 1-line block ×3, first 2 shown]
	v_mov_b32_e32 v2, s16
	v_add_nc_u64_e32 v[6:7], v[6:7], v[10:11]
	v_mov_b64_e32 v[12:13], s[6:7]
	v_mov_b64_e32 v[10:11], s[4:5]
	s_delay_alu instid0(VALU_DEP_3) | instskip(NEXT) | instid1(VALU_DEP_4)
	v_readfirstlane_b32 s8, v6
	v_readfirstlane_b32 s9, v7
	s_clause 0x3
	global_store_b128 v38, v[0:3], s[8:9]
	global_store_b128 v38, v[10:13], s[8:9] offset:16
	global_store_b128 v38, v[10:13], s[8:9] offset:32
	;; [unrolled: 1-line block ×3, first 2 shown]
	s_wait_xcnt 0x0
	s_and_saveexec_b32 s1, s0
	s_cbranch_execz .LBB2_1578
; %bb.1571:
	v_dual_mov_b32 v6, 0 :: v_dual_mov_b32 v11, s3
	s_mov_b32 s4, exec_lo
	s_clause 0x1
	global_load_b64 v[12:13], v6, s[20:21] offset:32 scope:SCOPE_SYS
	global_load_b64 v[0:1], v6, s[20:21] offset:40
	s_wait_loadcnt 0x0
	v_dual_mov_b32 v10, s2 :: v_dual_bitop2_b32 v1, s3, v1 bitop3:0x40
	v_and_b32_e32 v0, s2, v0
	s_delay_alu instid0(VALU_DEP_1) | instskip(NEXT) | instid1(VALU_DEP_1)
	v_mul_u64_e32 v[0:1], 24, v[0:1]
	v_add_nc_u64_e32 v[4:5], v[4:5], v[0:1]
	global_store_b64 v[4:5], v[12:13], off
	global_wb scope:SCOPE_SYS
	s_wait_storecnt 0x0
	s_wait_xcnt 0x0
	global_atomic_cmpswap_b64 v[2:3], v6, v[10:13], s[20:21] offset:32 th:TH_ATOMIC_RETURN scope:SCOPE_SYS
	s_wait_loadcnt 0x0
	v_cmpx_ne_u64_e64 v[2:3], v[12:13]
	s_cbranch_execz .LBB2_1574
; %bb.1572:
	s_mov_b32 s5, 0
.LBB2_1573:                             ; =>This Inner Loop Header: Depth=1
	v_dual_mov_b32 v0, s2 :: v_dual_mov_b32 v1, s3
	s_sleep 1
	global_store_b64 v[4:5], v[2:3], off
	global_wb scope:SCOPE_SYS
	s_wait_storecnt 0x0
	s_wait_xcnt 0x0
	global_atomic_cmpswap_b64 v[0:1], v6, v[0:3], s[20:21] offset:32 th:TH_ATOMIC_RETURN scope:SCOPE_SYS
	s_wait_loadcnt 0x0
	v_cmp_eq_u64_e32 vcc_lo, v[0:1], v[2:3]
	v_mov_b64_e32 v[2:3], v[0:1]
	s_or_b32 s5, vcc_lo, s5
	s_delay_alu instid0(SALU_CYCLE_1)
	s_and_not1_b32 exec_lo, exec_lo, s5
	s_cbranch_execnz .LBB2_1573
.LBB2_1574:
	s_or_b32 exec_lo, exec_lo, s4
	v_mov_b32_e32 v3, 0
	s_mov_b32 s5, exec_lo
	s_mov_b32 s4, exec_lo
	v_mbcnt_lo_u32_b32 v2, s5, 0
	global_load_b64 v[0:1], v3, s[20:21] offset:16
	s_wait_xcnt 0x0
	v_cmpx_eq_u32_e32 0, v2
	s_cbranch_execz .LBB2_1576
; %bb.1575:
	s_bcnt1_i32_b32 s5, s5
	s_delay_alu instid0(SALU_CYCLE_1)
	v_mov_b32_e32 v2, s5
	global_wb scope:SCOPE_SYS
	s_wait_loadcnt 0x0
	s_wait_storecnt 0x0
	global_atomic_add_u64 v[0:1], v[2:3], off offset:8 scope:SCOPE_SYS
.LBB2_1576:
	s_wait_xcnt 0x0
	s_or_b32 exec_lo, exec_lo, s4
	s_wait_loadcnt 0x0
	global_load_b64 v[2:3], v[0:1], off offset:16
	s_wait_loadcnt 0x0
	v_cmp_eq_u64_e32 vcc_lo, 0, v[2:3]
	s_cbranch_vccnz .LBB2_1578
; %bb.1577:
	global_load_b32 v0, v[0:1], off offset:24
	s_wait_xcnt 0x0
	v_mov_b32_e32 v1, 0
	s_wait_loadcnt 0x0
	v_readfirstlane_b32 s4, v0
	global_wb scope:SCOPE_SYS
	s_wait_storecnt 0x0
	global_store_b64 v[2:3], v[0:1], off scope:SCOPE_SYS
	s_and_b32 m0, s4, 0xffffff
	s_sendmsg sendmsg(MSG_INTERRUPT)
.LBB2_1578:
	s_wait_xcnt 0x0
	s_or_b32 exec_lo, exec_lo, s1
	s_branch .LBB2_1582
.LBB2_1579:                             ;   in Loop: Header=BB2_1582 Depth=1
	s_wait_xcnt 0x0
	s_or_b32 exec_lo, exec_lo, s1
	s_delay_alu instid0(VALU_DEP_1)
	v_readfirstlane_b32 s1, v0
	s_cmp_eq_u32 s1, 0
	s_cbranch_scc1 .LBB2_1581
; %bb.1580:                             ;   in Loop: Header=BB2_1582 Depth=1
	s_sleep 1
	s_cbranch_execnz .LBB2_1582
	s_branch .LBB2_1584
.LBB2_1581:
	s_branch .LBB2_1584
.LBB2_1582:                             ; =>This Inner Loop Header: Depth=1
	v_mov_b32_e32 v0, 1
	s_and_saveexec_b32 s1, s0
	s_cbranch_execz .LBB2_1579
; %bb.1583:                             ;   in Loop: Header=BB2_1582 Depth=1
	global_load_b32 v0, v[8:9], off offset:20 scope:SCOPE_SYS
	s_wait_loadcnt 0x0
	global_inv scope:SCOPE_SYS
	v_and_b32_e32 v0, 1, v0
	s_branch .LBB2_1579
.LBB2_1584:
	s_and_saveexec_b32 s4, s0
	s_cbranch_execz .LBB2_1588
; %bb.1585:
	v_mov_b32_e32 v6, 0
	s_clause 0x2
	global_load_b64 v[0:1], v6, s[20:21] offset:40
	global_load_b64 v[10:11], v6, s[20:21] offset:24 scope:SCOPE_SYS
	global_load_b64 v[2:3], v6, s[20:21]
	s_wait_loadcnt 0x2
	v_readfirstlane_b32 s6, v0
	v_readfirstlane_b32 s7, v1
	s_add_nc_u64 s[0:1], s[6:7], 1
	s_delay_alu instid0(SALU_CYCLE_1) | instskip(NEXT) | instid1(SALU_CYCLE_1)
	s_add_nc_u64 s[2:3], s[0:1], s[2:3]
	s_cmp_eq_u64 s[2:3], 0
	s_cselect_b32 s1, s1, s3
	s_cselect_b32 s0, s0, s2
	v_mov_b32_e32 v9, s1
	s_and_b64 s[2:3], s[0:1], s[6:7]
	v_mov_b32_e32 v8, s0
	s_mul_u64 s[2:3], s[2:3], 24
	s_wait_loadcnt 0x0
	v_add_nc_u64_e32 v[4:5], s[2:3], v[2:3]
	global_store_b64 v[4:5], v[10:11], off
	global_wb scope:SCOPE_SYS
	s_wait_storecnt 0x0
	s_wait_xcnt 0x0
	global_atomic_cmpswap_b64 v[2:3], v6, v[8:11], s[20:21] offset:24 th:TH_ATOMIC_RETURN scope:SCOPE_SYS
	s_wait_loadcnt 0x0
	v_cmp_ne_u64_e32 vcc_lo, v[2:3], v[10:11]
	s_and_b32 exec_lo, exec_lo, vcc_lo
	s_cbranch_execz .LBB2_1588
; %bb.1586:
	s_mov_b32 s2, 0
.LBB2_1587:                             ; =>This Inner Loop Header: Depth=1
	v_dual_mov_b32 v0, s0 :: v_dual_mov_b32 v1, s1
	s_sleep 1
	global_store_b64 v[4:5], v[2:3], off
	global_wb scope:SCOPE_SYS
	s_wait_storecnt 0x0
	s_wait_xcnt 0x0
	global_atomic_cmpswap_b64 v[0:1], v6, v[0:3], s[20:21] offset:24 th:TH_ATOMIC_RETURN scope:SCOPE_SYS
	s_wait_loadcnt 0x0
	v_cmp_eq_u64_e32 vcc_lo, v[0:1], v[2:3]
	v_mov_b64_e32 v[2:3], v[0:1]
	s_or_b32 s2, vcc_lo, s2
	s_delay_alu instid0(SALU_CYCLE_1)
	s_and_not1_b32 exec_lo, exec_lo, s2
	s_cbranch_execnz .LBB2_1587
.LBB2_1588:
	s_or_b32 exec_lo, exec_lo, s4
	v_readfirstlane_b32 s0, v46
	v_mov_b64_e32 v[4:5], 0
	s_delay_alu instid0(VALU_DEP_2)
	v_cmp_eq_u32_e64 s0, s0, v46
	s_and_saveexec_b32 s1, s0
	s_cbranch_execz .LBB2_1594
; %bb.1589:
	v_mov_b32_e32 v0, 0
	s_mov_b32 s2, exec_lo
	global_load_b64 v[6:7], v0, s[20:21] offset:24 scope:SCOPE_SYS
	s_wait_loadcnt 0x0
	global_inv scope:SCOPE_SYS
	s_clause 0x1
	global_load_b64 v[2:3], v0, s[20:21] offset:40
	global_load_b64 v[4:5], v0, s[20:21]
	s_wait_loadcnt 0x1
	v_and_b32_e32 v2, v2, v6
	v_and_b32_e32 v3, v3, v7
	s_delay_alu instid0(VALU_DEP_1) | instskip(SKIP_1) | instid1(VALU_DEP_1)
	v_mul_u64_e32 v[2:3], 24, v[2:3]
	s_wait_loadcnt 0x0
	v_add_nc_u64_e32 v[2:3], v[4:5], v[2:3]
	global_load_b64 v[4:5], v[2:3], off scope:SCOPE_SYS
	s_wait_xcnt 0x0
	s_wait_loadcnt 0x0
	global_atomic_cmpswap_b64 v[4:5], v0, v[4:7], s[20:21] offset:24 th:TH_ATOMIC_RETURN scope:SCOPE_SYS
	s_wait_loadcnt 0x0
	global_inv scope:SCOPE_SYS
	s_wait_xcnt 0x0
	v_cmpx_ne_u64_e64 v[4:5], v[6:7]
	s_cbranch_execz .LBB2_1593
; %bb.1590:
	s_mov_b32 s3, 0
.LBB2_1591:                             ; =>This Inner Loop Header: Depth=1
	s_sleep 1
	s_clause 0x1
	global_load_b64 v[2:3], v0, s[20:21] offset:40
	global_load_b64 v[8:9], v0, s[20:21]
	v_mov_b64_e32 v[6:7], v[4:5]
	s_wait_loadcnt 0x1
	s_delay_alu instid0(VALU_DEP_1) | instskip(SKIP_1) | instid1(VALU_DEP_1)
	v_and_b32_e32 v1, v2, v6
	s_wait_loadcnt 0x0
	v_mad_nc_u64_u32 v[4:5], v1, 24, v[8:9]
	s_delay_alu instid0(VALU_DEP_3) | instskip(NEXT) | instid1(VALU_DEP_1)
	v_and_b32_e32 v1, v3, v7
	v_mad_u32 v5, v1, 24, v5
	global_load_b64 v[4:5], v[4:5], off scope:SCOPE_SYS
	s_wait_xcnt 0x0
	s_wait_loadcnt 0x0
	global_atomic_cmpswap_b64 v[4:5], v0, v[4:7], s[20:21] offset:24 th:TH_ATOMIC_RETURN scope:SCOPE_SYS
	s_wait_loadcnt 0x0
	global_inv scope:SCOPE_SYS
	v_cmp_eq_u64_e32 vcc_lo, v[4:5], v[6:7]
	s_or_b32 s3, vcc_lo, s3
	s_wait_xcnt 0x0
	s_and_not1_b32 exec_lo, exec_lo, s3
	s_cbranch_execnz .LBB2_1591
; %bb.1592:
	s_or_b32 exec_lo, exec_lo, s3
.LBB2_1593:
	s_delay_alu instid0(SALU_CYCLE_1)
	s_or_b32 exec_lo, exec_lo, s2
.LBB2_1594:
	s_delay_alu instid0(SALU_CYCLE_1)
	s_or_b32 exec_lo, exec_lo, s1
	v_readfirstlane_b32 s2, v4
	v_mov_b32_e32 v39, 0
	v_readfirstlane_b32 s3, v5
	s_mov_b32 s1, exec_lo
	s_clause 0x1
	global_load_b64 v[6:7], v39, s[20:21] offset:40
	global_load_b128 v[0:3], v39, s[20:21]
	s_wait_loadcnt 0x1
	v_and_b32_e32 v6, s2, v6
	v_and_b32_e32 v7, s3, v7
	s_delay_alu instid0(VALU_DEP_1) | instskip(SKIP_1) | instid1(VALU_DEP_1)
	v_mul_u64_e32 v[4:5], 24, v[6:7]
	s_wait_loadcnt 0x0
	v_add_nc_u64_e32 v[4:5], v[0:1], v[4:5]
	s_wait_xcnt 0x0
	s_and_saveexec_b32 s4, s0
	s_cbranch_execz .LBB2_1596
; %bb.1595:
	v_mov_b64_e32 v[10:11], 0x100000002
	v_dual_mov_b32 v8, s1 :: v_dual_mov_b32 v9, v39
	global_store_b128 v[4:5], v[8:11], off offset:8
.LBB2_1596:
	s_wait_xcnt 0x0
	s_or_b32 exec_lo, exec_lo, s4
	v_lshlrev_b64_e32 v[6:7], 12, v[6:7]
	s_mov_b32 s4, 0
	v_dual_mov_b32 v8, 33 :: v_dual_mov_b32 v9, v39
	s_mov_b32 s6, s4
	s_mov_b32 s7, s4
	;; [unrolled: 1-line block ×3, first 2 shown]
	s_delay_alu instid0(VALU_DEP_2) | instskip(SKIP_3) | instid1(VALU_DEP_4)
	v_add_nc_u64_e32 v[6:7], v[2:3], v[6:7]
	v_mov_b64_e32 v[14:15], s[6:7]
	v_mov_b64_e32 v[12:13], s[4:5]
	v_dual_mov_b32 v10, v39 :: v_dual_mov_b32 v11, v39
	v_readfirstlane_b32 s8, v6
	v_readfirstlane_b32 s9, v7
	s_clause 0x3
	global_store_b128 v38, v[8:11], s[8:9]
	global_store_b128 v38, v[12:15], s[8:9] offset:16
	global_store_b128 v38, v[12:15], s[8:9] offset:32
	;; [unrolled: 1-line block ×3, first 2 shown]
	s_wait_xcnt 0x0
	s_and_saveexec_b32 s1, s0
	s_cbranch_execz .LBB2_1604
; %bb.1597:
	v_dual_mov_b32 v10, 0 :: v_dual_mov_b32 v13, s3
	s_mov_b32 s4, exec_lo
	s_clause 0x1
	global_load_b64 v[14:15], v10, s[20:21] offset:32 scope:SCOPE_SYS
	global_load_b64 v[2:3], v10, s[20:21] offset:40
	s_wait_loadcnt 0x0
	v_dual_mov_b32 v12, s2 :: v_dual_bitop2_b32 v3, s3, v3 bitop3:0x40
	v_and_b32_e32 v2, s2, v2
	s_delay_alu instid0(VALU_DEP_1) | instskip(NEXT) | instid1(VALU_DEP_1)
	v_mul_u64_e32 v[2:3], 24, v[2:3]
	v_add_nc_u64_e32 v[8:9], v[0:1], v[2:3]
	global_store_b64 v[8:9], v[14:15], off
	global_wb scope:SCOPE_SYS
	s_wait_storecnt 0x0
	s_wait_xcnt 0x0
	global_atomic_cmpswap_b64 v[2:3], v10, v[12:15], s[20:21] offset:32 th:TH_ATOMIC_RETURN scope:SCOPE_SYS
	s_wait_loadcnt 0x0
	v_cmpx_ne_u64_e64 v[2:3], v[14:15]
	s_cbranch_execz .LBB2_1600
; %bb.1598:
	s_mov_b32 s5, 0
.LBB2_1599:                             ; =>This Inner Loop Header: Depth=1
	v_dual_mov_b32 v0, s2 :: v_dual_mov_b32 v1, s3
	s_sleep 1
	global_store_b64 v[8:9], v[2:3], off
	global_wb scope:SCOPE_SYS
	s_wait_storecnt 0x0
	s_wait_xcnt 0x0
	global_atomic_cmpswap_b64 v[0:1], v10, v[0:3], s[20:21] offset:32 th:TH_ATOMIC_RETURN scope:SCOPE_SYS
	s_wait_loadcnt 0x0
	v_cmp_eq_u64_e32 vcc_lo, v[0:1], v[2:3]
	v_mov_b64_e32 v[2:3], v[0:1]
	s_or_b32 s5, vcc_lo, s5
	s_delay_alu instid0(SALU_CYCLE_1)
	s_and_not1_b32 exec_lo, exec_lo, s5
	s_cbranch_execnz .LBB2_1599
.LBB2_1600:
	s_or_b32 exec_lo, exec_lo, s4
	v_mov_b32_e32 v3, 0
	s_mov_b32 s5, exec_lo
	s_mov_b32 s4, exec_lo
	v_mbcnt_lo_u32_b32 v2, s5, 0
	global_load_b64 v[0:1], v3, s[20:21] offset:16
	s_wait_xcnt 0x0
	v_cmpx_eq_u32_e32 0, v2
	s_cbranch_execz .LBB2_1602
; %bb.1601:
	s_bcnt1_i32_b32 s5, s5
	s_delay_alu instid0(SALU_CYCLE_1)
	v_mov_b32_e32 v2, s5
	global_wb scope:SCOPE_SYS
	s_wait_loadcnt 0x0
	s_wait_storecnt 0x0
	global_atomic_add_u64 v[0:1], v[2:3], off offset:8 scope:SCOPE_SYS
.LBB2_1602:
	s_wait_xcnt 0x0
	s_or_b32 exec_lo, exec_lo, s4
	s_wait_loadcnt 0x0
	global_load_b64 v[2:3], v[0:1], off offset:16
	s_wait_loadcnt 0x0
	v_cmp_eq_u64_e32 vcc_lo, 0, v[2:3]
	s_cbranch_vccnz .LBB2_1604
; %bb.1603:
	global_load_b32 v0, v[0:1], off offset:24
	s_wait_xcnt 0x0
	v_mov_b32_e32 v1, 0
	s_wait_loadcnt 0x0
	v_readfirstlane_b32 s4, v0
	global_wb scope:SCOPE_SYS
	s_wait_storecnt 0x0
	global_store_b64 v[2:3], v[0:1], off scope:SCOPE_SYS
	s_and_b32 m0, s4, 0xffffff
	s_sendmsg sendmsg(MSG_INTERRUPT)
.LBB2_1604:
	s_wait_xcnt 0x0
	s_or_b32 exec_lo, exec_lo, s1
	v_add_nc_u64_e32 v[0:1], v[6:7], v[38:39]
	s_branch .LBB2_1608
.LBB2_1605:                             ;   in Loop: Header=BB2_1608 Depth=1
	s_wait_xcnt 0x0
	s_or_b32 exec_lo, exec_lo, s1
	s_delay_alu instid0(VALU_DEP_1)
	v_readfirstlane_b32 s1, v2
	s_cmp_eq_u32 s1, 0
	s_cbranch_scc1 .LBB2_1607
; %bb.1606:                             ;   in Loop: Header=BB2_1608 Depth=1
	s_sleep 1
	s_cbranch_execnz .LBB2_1608
	s_branch .LBB2_1610
.LBB2_1607:
	s_branch .LBB2_1610
.LBB2_1608:                             ; =>This Inner Loop Header: Depth=1
	v_mov_b32_e32 v2, 1
	s_and_saveexec_b32 s1, s0
	s_cbranch_execz .LBB2_1605
; %bb.1609:                             ;   in Loop: Header=BB2_1608 Depth=1
	global_load_b32 v2, v[4:5], off offset:20 scope:SCOPE_SYS
	s_wait_loadcnt 0x0
	global_inv scope:SCOPE_SYS
	v_and_b32_e32 v2, 1, v2
	s_branch .LBB2_1605
.LBB2_1610:
	global_load_b64 v[0:1], v[0:1], off
	s_wait_xcnt 0x0
	s_and_saveexec_b32 s4, s0
	s_cbranch_execz .LBB2_1614
; %bb.1611:
	v_mov_b32_e32 v8, 0
	s_clause 0x2
	global_load_b64 v[2:3], v8, s[20:21] offset:40
	global_load_b64 v[12:13], v8, s[20:21] offset:24 scope:SCOPE_SYS
	global_load_b64 v[4:5], v8, s[20:21]
	s_wait_loadcnt 0x2
	v_readfirstlane_b32 s6, v2
	v_readfirstlane_b32 s7, v3
	s_add_nc_u64 s[0:1], s[6:7], 1
	s_delay_alu instid0(SALU_CYCLE_1) | instskip(NEXT) | instid1(SALU_CYCLE_1)
	s_add_nc_u64 s[2:3], s[0:1], s[2:3]
	s_cmp_eq_u64 s[2:3], 0
	s_cselect_b32 s1, s1, s3
	s_cselect_b32 s0, s0, s2
	v_mov_b32_e32 v11, s1
	s_and_b64 s[2:3], s[0:1], s[6:7]
	v_mov_b32_e32 v10, s0
	s_mul_u64 s[2:3], s[2:3], 24
	s_wait_loadcnt 0x0
	v_add_nc_u64_e32 v[6:7], s[2:3], v[4:5]
	global_store_b64 v[6:7], v[12:13], off
	global_wb scope:SCOPE_SYS
	s_wait_storecnt 0x0
	s_wait_xcnt 0x0
	global_atomic_cmpswap_b64 v[4:5], v8, v[10:13], s[20:21] offset:24 th:TH_ATOMIC_RETURN scope:SCOPE_SYS
	s_wait_loadcnt 0x0
	v_cmp_ne_u64_e32 vcc_lo, v[4:5], v[12:13]
	s_and_b32 exec_lo, exec_lo, vcc_lo
	s_cbranch_execz .LBB2_1614
; %bb.1612:
	s_mov_b32 s2, 0
.LBB2_1613:                             ; =>This Inner Loop Header: Depth=1
	v_dual_mov_b32 v2, s0 :: v_dual_mov_b32 v3, s1
	s_sleep 1
	global_store_b64 v[6:7], v[4:5], off
	global_wb scope:SCOPE_SYS
	s_wait_storecnt 0x0
	s_wait_xcnt 0x0
	global_atomic_cmpswap_b64 v[2:3], v8, v[2:5], s[20:21] offset:24 th:TH_ATOMIC_RETURN scope:SCOPE_SYS
	s_wait_loadcnt 0x0
	v_cmp_eq_u64_e32 vcc_lo, v[2:3], v[4:5]
	v_mov_b64_e32 v[4:5], v[2:3]
	s_or_b32 s2, vcc_lo, s2
	s_delay_alu instid0(SALU_CYCLE_1)
	s_and_not1_b32 exec_lo, exec_lo, s2
	s_cbranch_execnz .LBB2_1613
.LBB2_1614:
	s_or_b32 exec_lo, exec_lo, s4
	s_get_pc_i64 s[0:1]
	s_add_nc_u64 s[0:1], s[0:1], .str.10@rel64+4
	s_delay_alu instid0(SALU_CYCLE_1) | instskip(SKIP_3) | instid1(SALU_CYCLE_1)
	v_dual_mov_b32 v5, 0 :: v_dual_mov_b32 v2, s0
	s_cmp_lg_u64 s[0:1], 0
	v_mov_b32_e32 v6, 1
	s_cselect_b32 s2, 19, 0
	v_dual_mov_b32 v3, s1 :: v_dual_mov_b32 v4, s2
	s_mov_b64 s[8:9], s[14:15]
	s_swap_pc_i64 s[30:31], s[18:19]
	s_endpgm
	.section	.rodata,"a",@progbits
	.p2align	6, 0x0
	.amdhsa_kernel _Z8printAIGPKiS0_S0_iii
		.amdhsa_group_segment_fixed_size 0
		.amdhsa_private_segment_fixed_size 0
		.amdhsa_kernarg_size 296
		.amdhsa_user_sgpr_count 2
		.amdhsa_user_sgpr_dispatch_ptr 0
		.amdhsa_user_sgpr_queue_ptr 0
		.amdhsa_user_sgpr_kernarg_segment_ptr 1
		.amdhsa_user_sgpr_dispatch_id 0
		.amdhsa_user_sgpr_kernarg_preload_length 0
		.amdhsa_user_sgpr_kernarg_preload_offset 0
		.amdhsa_user_sgpr_private_segment_size 0
		.amdhsa_wavefront_size32 1
		.amdhsa_uses_dynamic_stack 0
		.amdhsa_enable_private_segment 0
		.amdhsa_system_sgpr_workgroup_id_x 1
		.amdhsa_system_sgpr_workgroup_id_y 0
		.amdhsa_system_sgpr_workgroup_id_z 0
		.amdhsa_system_sgpr_workgroup_info 0
		.amdhsa_system_vgpr_workitem_id 0
		.amdhsa_next_free_vgpr 47
		.amdhsa_next_free_sgpr 52
		.amdhsa_named_barrier_count 0
		.amdhsa_reserve_vcc 1
		.amdhsa_float_round_mode_32 0
		.amdhsa_float_round_mode_16_64 0
		.amdhsa_float_denorm_mode_32 3
		.amdhsa_float_denorm_mode_16_64 3
		.amdhsa_fp16_overflow 0
		.amdhsa_memory_ordered 1
		.amdhsa_forward_progress 1
		.amdhsa_inst_pref_size 255
		.amdhsa_round_robin_scheduling 0
		.amdhsa_exception_fp_ieee_invalid_op 0
		.amdhsa_exception_fp_denorm_src 0
		.amdhsa_exception_fp_ieee_div_zero 0
		.amdhsa_exception_fp_ieee_overflow 0
		.amdhsa_exception_fp_ieee_underflow 0
		.amdhsa_exception_fp_ieee_inexact 0
		.amdhsa_exception_int_div_zero 0
	.end_amdhsa_kernel
	.text
.Lfunc_end2:
	.size	_Z8printAIGPKiS0_S0_iii, .Lfunc_end2-_Z8printAIGPKiS0_S0_iii
                                        ; -- End function
	.set _Z8printAIGPKiS0_S0_iii.num_vgpr, max(47, .L__ockl_printf_append_string_n.num_vgpr)
	.set _Z8printAIGPKiS0_S0_iii.num_agpr, max(0, .L__ockl_printf_append_string_n.num_agpr)
	.set _Z8printAIGPKiS0_S0_iii.numbered_sgpr, max(52, .L__ockl_printf_append_string_n.numbered_sgpr)
	.set _Z8printAIGPKiS0_S0_iii.num_named_barrier, max(0, .L__ockl_printf_append_string_n.num_named_barrier)
	.set _Z8printAIGPKiS0_S0_iii.private_seg_size, 0+max(.L__ockl_printf_append_string_n.private_seg_size)
	.set _Z8printAIGPKiS0_S0_iii.uses_vcc, or(1, .L__ockl_printf_append_string_n.uses_vcc)
	.set _Z8printAIGPKiS0_S0_iii.uses_flat_scratch, or(0, .L__ockl_printf_append_string_n.uses_flat_scratch)
	.set _Z8printAIGPKiS0_S0_iii.has_dyn_sized_stack, or(0, .L__ockl_printf_append_string_n.has_dyn_sized_stack)
	.set _Z8printAIGPKiS0_S0_iii.has_recursion, or(0, .L__ockl_printf_append_string_n.has_recursion)
	.set _Z8printAIGPKiS0_S0_iii.has_indirect_call, or(0, .L__ockl_printf_append_string_n.has_indirect_call)
	.section	.AMDGPU.csdata,"",@progbits
; Kernel info:
; codeLenInByte = 65600
; TotalNumSgprs: 54
; NumVgprs: 47
; ScratchSize: 0
; MemoryBound: 0
; FloatMode: 240
; IeeeMode: 1
; LDSByteSize: 0 bytes/workgroup (compile time only)
; SGPRBlocks: 0
; VGPRBlocks: 2
; NumSGPRsForWavesPerEU: 54
; NumVGPRsForWavesPerEU: 47
; NamedBarCnt: 0
; Occupancy: 16
; WaveLimiterHint : 1
; COMPUTE_PGM_RSRC2:SCRATCH_EN: 0
; COMPUTE_PGM_RSRC2:USER_SGPR: 2
; COMPUTE_PGM_RSRC2:TRAP_HANDLER: 0
; COMPUTE_PGM_RSRC2:TGID_X_EN: 1
; COMPUTE_PGM_RSRC2:TGID_Y_EN: 0
; COMPUTE_PGM_RSRC2:TGID_Z_EN: 0
; COMPUTE_PGM_RSRC2:TIDIG_COMP_CNT: 0
	.text
	.protected	_Z9printMffcPiS_S_PKiS1_iii ; -- Begin function _Z9printMffcPiS_S_PKiS1_iii
	.globl	_Z9printMffcPiS_S_PKiS1_iii
	.p2align	8
	.type	_Z9printMffcPiS_S_PKiS1_iii,@function
_Z9printMffcPiS_S_PKiS1_iii:            ; @_Z9printMffcPiS_S_PKiS1_iii
; %bb.0:
	s_load_b64 s[2:3], s[0:1], 0x28
	s_wait_kmcnt 0x0
	s_cmp_lt_i32 s2, 1
	s_cbranch_scc1 .LBB3_6
; %bb.1:
	s_load_b128 s[4:7], s[0:1], 0x8
	s_cmp_eq_u32 s2, 1
	s_cselect_b32 s9, -1, 0
	s_delay_alu instid0(SALU_CYCLE_1)
	s_and_b32 vcc_lo, exec_lo, s9
	s_cbranch_vccnz .LBB3_8
; %bb.2:
	s_add_co_i32 s8, s3, 1
	s_add_co_i32 s9, s3, s2
	s_delay_alu instid0(SALU_CYCLE_1)
	s_cmp_ge_i32 s9, s8
	s_cbranch_scc0 .LBB3_7
; %bb.3:
	s_and_b32 s11, s2, 0x7ffffffe
	s_mov_b32 s10, 0
	s_mov_b32 s12, s11
	;; [unrolled: 1-line block ×5, first 2 shown]
.LBB3_4:                                ; =>This Inner Loop Header: Depth=1
	s_ashr_i32 s9, s8, 31
	s_delay_alu instid0(SALU_CYCLE_1)
	s_lshl_b64 s[16:17], s[8:9], 2
	s_wait_kmcnt 0x0
	s_add_nc_u64 s[18:19], s[6:7], s[16:17]
	s_add_nc_u64 s[16:17], s[4:5], s[16:17]
	s_load_b64 s[20:21], s[18:19], 0x0
	s_wait_kmcnt 0x0
	s_cmp_lt_i32 s21, 2
	s_load_b64 s[18:19], s[16:17], 0x0
	s_cselect_b32 s9, -1, 0
	s_cmp_lt_i32 s20, 2
	s_wait_xcnt 0x0
	s_cselect_b32 s16, -1, 0
	s_wait_kmcnt 0x0
	s_cmp_lg_u32 s19, -1
	s_cselect_b32 s17, -1, 0
	s_cmp_lg_u32 s18, -1
	s_cselect_b32 s20, -1, 0
	s_and_b32 s9, s9, s17
	s_and_b32 s16, s16, s20
	s_cmp_lg_u32 s9, 0
	s_add_co_ci_u32 s13, s13, 0
	s_cmp_lg_u32 s16, 0
	s_add_co_ci_u32 s10, s10, 0
	s_cmp_eq_u32 s18, -1
	s_cselect_b32 s9, -1, 0
	s_cmp_eq_u32 s19, -1
	s_cselect_b32 s16, -1, 0
	s_delay_alu instid0(SALU_CYCLE_1)
	s_cmp_lg_u32 s16, 0
	s_add_co_ci_u32 s15, s15, 0
	s_cmp_lg_u32 s9, 0
	s_add_co_ci_u32 s14, s14, 0
	s_add_co_i32 s12, s12, -2
	s_add_co_i32 s8, s8, 2
	s_cmp_lg_u32 s12, 0
	s_cbranch_scc1 .LBB3_4
; %bb.5:
	s_add_co_i32 s10, s10, s13
	s_add_co_i32 s8, s14, s15
	s_cmp_lg_u32 s2, s11
	s_cselect_b32 s9, -1, 0
	s_delay_alu instid0(SALU_CYCLE_1)
	s_and_b32 vcc_lo, exec_lo, s9
	s_cbranch_vccnz .LBB3_9
	s_branch .LBB3_11
.LBB3_6:
	s_mov_b64 s[10:11], 0
	s_mov_b64 s[8:9], 0
	s_branch .LBB3_12
.LBB3_7:
	s_mov_b32 s9, -1
.LBB3_8:
	s_mov_b32 s8, 0
	s_mov_b32 s11, 0
	;; [unrolled: 1-line block ×3, first 2 shown]
	s_and_b32 vcc_lo, exec_lo, s9
	s_cbranch_vccz .LBB3_11
.LBB3_9:
	s_add_co_i32 s3, s11, s3
	s_sub_co_i32 s9, s2, s11
	s_add_co_i32 s2, s3, 1
.LBB3_10:                               ; =>This Inner Loop Header: Depth=1
	s_delay_alu instid0(SALU_CYCLE_1) | instskip(NEXT) | instid1(SALU_CYCLE_1)
	s_ashr_i32 s3, s2, 31
	s_lshl_b64 s[12:13], s[2:3], 2
	s_wait_kmcnt 0x0
	s_add_nc_u64 s[14:15], s[6:7], s[12:13]
	s_add_nc_u64 s[12:13], s[4:5], s[12:13]
	s_load_b32 s3, s[14:15], 0x0
	s_load_b32 s11, s[12:13], 0x0
	s_wait_kmcnt 0x0
	s_cmp_lt_i32 s3, 2
	s_cselect_b32 s3, -1, 0
	s_cmp_lg_u32 s11, -1
	s_cselect_b32 s12, -1, 0
	s_delay_alu instid0(SALU_CYCLE_1) | instskip(NEXT) | instid1(SALU_CYCLE_1)
	s_and_b32 s3, s3, s12
	s_cmp_lg_u32 s3, 0
	s_add_co_ci_u32 s10, s10, 0
	s_cmp_eq_u32 s11, -1
	s_cselect_b32 s3, -1, 0
	s_delay_alu instid0(SALU_CYCLE_1)
	s_cmp_lg_u32 s3, 0
	s_add_co_ci_u32 s8, s8, 0
	s_add_co_i32 s9, s9, -1
	s_add_co_i32 s2, s2, 1
	s_cmp_eq_u32 s9, 0
	s_cbranch_scc0 .LBB3_10
.LBB3_11:
	s_mov_b32 s11, 0
	s_delay_alu instid0(SALU_CYCLE_1)
	s_mov_b32 s9, s11
.LBB3_12:
	s_load_b64 s[2:3], s[0:1], 0x88
	v_mbcnt_lo_u32_b32 v29, -1, 0
	v_mov_b64_e32 v[2:3], 0
	s_wait_xcnt 0x0
	s_delay_alu instid0(VALU_DEP_2) | instskip(NEXT) | instid1(VALU_DEP_1)
	v_readfirstlane_b32 s0, v29
	v_cmp_eq_u32_e64 s0, s0, v29
	s_and_saveexec_b32 s1, s0
	s_cbranch_execz .LBB3_18
; %bb.13:
	v_mov_b32_e32 v0, 0
	s_wait_kmcnt 0x0
	s_mov_b32 s4, exec_lo
	global_load_b64 v[4:5], v0, s[2:3] offset:24 scope:SCOPE_SYS
	s_wait_loadcnt 0x0
	global_inv scope:SCOPE_SYS
	s_clause 0x1
	global_load_b64 v[2:3], v0, s[2:3] offset:40
	global_load_b64 v[6:7], v0, s[2:3]
	s_wait_loadcnt 0x1
	v_and_b32_e32 v2, v2, v4
	v_and_b32_e32 v3, v3, v5
	s_delay_alu instid0(VALU_DEP_1) | instskip(SKIP_1) | instid1(VALU_DEP_1)
	v_mul_u64_e32 v[2:3], 24, v[2:3]
	s_wait_loadcnt 0x0
	v_add_nc_u64_e32 v[2:3], v[6:7], v[2:3]
	global_load_b64 v[2:3], v[2:3], off scope:SCOPE_SYS
	s_wait_xcnt 0x0
	s_wait_loadcnt 0x0
	global_atomic_cmpswap_b64 v[2:3], v0, v[2:5], s[2:3] offset:24 th:TH_ATOMIC_RETURN scope:SCOPE_SYS
	s_wait_loadcnt 0x0
	global_inv scope:SCOPE_SYS
	s_wait_xcnt 0x0
	v_cmpx_ne_u64_e64 v[2:3], v[4:5]
	s_cbranch_execz .LBB3_17
; %bb.14:
	s_mov_b32 s5, 0
.LBB3_15:                               ; =>This Inner Loop Header: Depth=1
	s_sleep 1
	s_clause 0x1
	global_load_b64 v[6:7], v0, s[2:3] offset:40
	global_load_b64 v[8:9], v0, s[2:3]
	v_mov_b64_e32 v[4:5], v[2:3]
	s_wait_loadcnt 0x1
	s_delay_alu instid0(VALU_DEP_1) | instskip(SKIP_1) | instid1(VALU_DEP_1)
	v_and_b32_e32 v1, v6, v4
	s_wait_loadcnt 0x0
	v_mad_nc_u64_u32 v[2:3], v1, 24, v[8:9]
	s_delay_alu instid0(VALU_DEP_3) | instskip(NEXT) | instid1(VALU_DEP_1)
	v_and_b32_e32 v1, v7, v5
	v_mad_u32 v3, v1, 24, v3
	global_load_b64 v[2:3], v[2:3], off scope:SCOPE_SYS
	s_wait_xcnt 0x0
	s_wait_loadcnt 0x0
	global_atomic_cmpswap_b64 v[2:3], v0, v[2:5], s[2:3] offset:24 th:TH_ATOMIC_RETURN scope:SCOPE_SYS
	s_wait_loadcnt 0x0
	global_inv scope:SCOPE_SYS
	v_cmp_eq_u64_e32 vcc_lo, v[2:3], v[4:5]
	s_or_b32 s5, vcc_lo, s5
	s_wait_xcnt 0x0
	s_and_not1_b32 exec_lo, exec_lo, s5
	s_cbranch_execnz .LBB3_15
; %bb.16:
	s_or_b32 exec_lo, exec_lo, s5
.LBB3_17:
	s_delay_alu instid0(SALU_CYCLE_1)
	s_or_b32 exec_lo, exec_lo, s4
.LBB3_18:
	s_delay_alu instid0(SALU_CYCLE_1)
	s_or_b32 exec_lo, exec_lo, s1
	s_wait_kmcnt 0x0
	v_readfirstlane_b32 s4, v2
	v_mov_b32_e32 v1, 0
	v_readfirstlane_b32 s5, v3
	s_mov_b32 s1, exec_lo
	s_clause 0x1
	global_load_b64 v[8:9], v1, s[2:3] offset:40
	global_load_b128 v[4:7], v1, s[2:3]
	s_wait_loadcnt 0x1
	v_and_b32_e32 v10, s4, v8
	v_and_b32_e32 v11, s5, v9
	s_delay_alu instid0(VALU_DEP_1) | instskip(SKIP_1) | instid1(VALU_DEP_1)
	v_mul_u64_e32 v[2:3], 24, v[10:11]
	s_wait_loadcnt 0x0
	v_add_nc_u64_e32 v[8:9], v[4:5], v[2:3]
	s_and_saveexec_b32 s6, s0
	s_cbranch_execz .LBB3_20
; %bb.19:
	v_mov_b64_e32 v[2:3], 0x100000002
	v_mov_b32_e32 v0, s1
	global_store_b128 v[8:9], v[0:3], off offset:8
.LBB3_20:
	s_wait_xcnt 0x0
	s_or_b32 exec_lo, exec_lo, s6
	v_lshlrev_b64_e32 v[2:3], 12, v[10:11]
	s_mov_b32 s12, 0
	v_dual_lshlrev_b32 v0, 6, v29 :: v_dual_mov_b32 v10, 33
	s_mov_b32 s14, s12
	s_mov_b32 s15, s12
	;; [unrolled: 1-line block ×3, first 2 shown]
	s_delay_alu instid0(VALU_DEP_2)
	v_add_nc_u64_e32 v[6:7], v[6:7], v[2:3]
	v_mov_b64_e32 v[16:17], s[14:15]
	v_mov_b64_e32 v[14:15], s[12:13]
	v_dual_mov_b32 v11, v1 :: v_dual_mov_b32 v12, v1
	v_mov_b32_e32 v13, v1
	v_readfirstlane_b32 s6, v6
	v_readfirstlane_b32 s7, v7
	s_clause 0x3
	global_store_b128 v0, v[10:13], s[6:7]
	global_store_b128 v0, v[14:17], s[6:7] offset:16
	global_store_b128 v0, v[14:17], s[6:7] offset:32
	;; [unrolled: 1-line block ×3, first 2 shown]
	s_wait_xcnt 0x0
	s_and_saveexec_b32 s1, s0
	s_cbranch_execz .LBB3_28
; %bb.21:
	v_dual_mov_b32 v12, 0 :: v_dual_mov_b32 v15, s5
	s_mov_b32 s6, exec_lo
	s_clause 0x1
	global_load_b64 v[16:17], v12, s[2:3] offset:32 scope:SCOPE_SYS
	global_load_b64 v[2:3], v12, s[2:3] offset:40
	s_wait_loadcnt 0x0
	v_dual_mov_b32 v14, s4 :: v_dual_bitop2_b32 v3, s5, v3 bitop3:0x40
	v_and_b32_e32 v2, s4, v2
	s_delay_alu instid0(VALU_DEP_1) | instskip(NEXT) | instid1(VALU_DEP_1)
	v_mul_u64_e32 v[2:3], 24, v[2:3]
	v_add_nc_u64_e32 v[10:11], v[4:5], v[2:3]
	global_store_b64 v[10:11], v[16:17], off
	global_wb scope:SCOPE_SYS
	s_wait_storecnt 0x0
	s_wait_xcnt 0x0
	global_atomic_cmpswap_b64 v[4:5], v12, v[14:17], s[2:3] offset:32 th:TH_ATOMIC_RETURN scope:SCOPE_SYS
	s_wait_loadcnt 0x0
	v_cmpx_ne_u64_e64 v[4:5], v[16:17]
	s_cbranch_execz .LBB3_24
; %bb.22:
	s_mov_b32 s7, 0
.LBB3_23:                               ; =>This Inner Loop Header: Depth=1
	v_dual_mov_b32 v2, s4 :: v_dual_mov_b32 v3, s5
	s_sleep 1
	global_store_b64 v[10:11], v[4:5], off
	global_wb scope:SCOPE_SYS
	s_wait_storecnt 0x0
	s_wait_xcnt 0x0
	global_atomic_cmpswap_b64 v[2:3], v12, v[2:5], s[2:3] offset:32 th:TH_ATOMIC_RETURN scope:SCOPE_SYS
	s_wait_loadcnt 0x0
	v_cmp_eq_u64_e32 vcc_lo, v[2:3], v[4:5]
	v_mov_b64_e32 v[4:5], v[2:3]
	s_or_b32 s7, vcc_lo, s7
	s_delay_alu instid0(SALU_CYCLE_1)
	s_and_not1_b32 exec_lo, exec_lo, s7
	s_cbranch_execnz .LBB3_23
.LBB3_24:
	s_or_b32 exec_lo, exec_lo, s6
	v_mov_b32_e32 v5, 0
	s_mov_b32 s7, exec_lo
	s_mov_b32 s6, exec_lo
	v_mbcnt_lo_u32_b32 v4, s7, 0
	global_load_b64 v[2:3], v5, s[2:3] offset:16
	s_wait_xcnt 0x0
	v_cmpx_eq_u32_e32 0, v4
	s_cbranch_execz .LBB3_26
; %bb.25:
	s_bcnt1_i32_b32 s7, s7
	s_delay_alu instid0(SALU_CYCLE_1)
	v_mov_b32_e32 v4, s7
	global_wb scope:SCOPE_SYS
	s_wait_loadcnt 0x0
	s_wait_storecnt 0x0
	global_atomic_add_u64 v[2:3], v[4:5], off offset:8 scope:SCOPE_SYS
.LBB3_26:
	s_wait_xcnt 0x0
	s_or_b32 exec_lo, exec_lo, s6
	s_wait_loadcnt 0x0
	global_load_b64 v[4:5], v[2:3], off offset:16
	s_wait_loadcnt 0x0
	v_cmp_eq_u64_e32 vcc_lo, 0, v[4:5]
	s_cbranch_vccnz .LBB3_28
; %bb.27:
	global_load_b32 v2, v[2:3], off offset:24
	s_wait_xcnt 0x0
	v_mov_b32_e32 v3, 0
	s_wait_loadcnt 0x0
	v_readfirstlane_b32 s6, v2
	global_wb scope:SCOPE_SYS
	s_wait_storecnt 0x0
	global_store_b64 v[4:5], v[2:3], off scope:SCOPE_SYS
	s_and_b32 m0, s6, 0xffffff
	s_sendmsg sendmsg(MSG_INTERRUPT)
.LBB3_28:
	s_wait_xcnt 0x0
	s_or_b32 exec_lo, exec_lo, s1
	v_add_nc_u64_e32 v[2:3], v[6:7], v[0:1]
	s_branch .LBB3_32
.LBB3_29:                               ;   in Loop: Header=BB3_32 Depth=1
	s_wait_xcnt 0x0
	s_or_b32 exec_lo, exec_lo, s1
	s_delay_alu instid0(VALU_DEP_1)
	v_readfirstlane_b32 s1, v1
	s_cmp_eq_u32 s1, 0
	s_cbranch_scc1 .LBB3_31
; %bb.30:                               ;   in Loop: Header=BB3_32 Depth=1
	s_sleep 1
	s_cbranch_execnz .LBB3_32
	s_branch .LBB3_34
.LBB3_31:
	s_branch .LBB3_34
.LBB3_32:                               ; =>This Inner Loop Header: Depth=1
	v_mov_b32_e32 v1, 1
	s_and_saveexec_b32 s1, s0
	s_cbranch_execz .LBB3_29
; %bb.33:                               ;   in Loop: Header=BB3_32 Depth=1
	global_load_b32 v1, v[8:9], off offset:20 scope:SCOPE_SYS
	s_wait_loadcnt 0x0
	global_inv scope:SCOPE_SYS
	v_and_b32_e32 v1, 1, v1
	s_branch .LBB3_29
.LBB3_34:
	global_load_b64 v[2:3], v[2:3], off
	s_wait_xcnt 0x0
	s_and_saveexec_b32 s6, s0
	s_cbranch_execz .LBB3_38
; %bb.35:
	v_mov_b32_e32 v1, 0
	s_clause 0x2
	global_load_b64 v[4:5], v1, s[2:3] offset:40
	global_load_b64 v[12:13], v1, s[2:3] offset:24 scope:SCOPE_SYS
	global_load_b64 v[6:7], v1, s[2:3]
	s_wait_loadcnt 0x2
	v_readfirstlane_b32 s12, v4
	v_readfirstlane_b32 s13, v5
	s_add_nc_u64 s[0:1], s[12:13], 1
	s_delay_alu instid0(SALU_CYCLE_1) | instskip(NEXT) | instid1(SALU_CYCLE_1)
	s_add_nc_u64 s[4:5], s[0:1], s[4:5]
	s_cmp_eq_u64 s[4:5], 0
	s_cselect_b32 s1, s1, s5
	s_cselect_b32 s0, s0, s4
	v_mov_b32_e32 v11, s1
	s_and_b64 s[4:5], s[0:1], s[12:13]
	v_mov_b32_e32 v10, s0
	s_mul_u64 s[4:5], s[4:5], 24
	s_wait_loadcnt 0x0
	v_add_nc_u64_e32 v[8:9], s[4:5], v[6:7]
	global_store_b64 v[8:9], v[12:13], off
	global_wb scope:SCOPE_SYS
	s_wait_storecnt 0x0
	s_wait_xcnt 0x0
	global_atomic_cmpswap_b64 v[6:7], v1, v[10:13], s[2:3] offset:24 th:TH_ATOMIC_RETURN scope:SCOPE_SYS
	s_wait_loadcnt 0x0
	v_cmp_ne_u64_e32 vcc_lo, v[6:7], v[12:13]
	s_and_b32 exec_lo, exec_lo, vcc_lo
	s_cbranch_execz .LBB3_38
; %bb.36:
	s_mov_b32 s4, 0
.LBB3_37:                               ; =>This Inner Loop Header: Depth=1
	v_dual_mov_b32 v4, s0 :: v_dual_mov_b32 v5, s1
	s_sleep 1
	global_store_b64 v[8:9], v[6:7], off
	global_wb scope:SCOPE_SYS
	s_wait_storecnt 0x0
	s_wait_xcnt 0x0
	global_atomic_cmpswap_b64 v[4:5], v1, v[4:7], s[2:3] offset:24 th:TH_ATOMIC_RETURN scope:SCOPE_SYS
	s_wait_loadcnt 0x0
	v_cmp_eq_u64_e32 vcc_lo, v[4:5], v[6:7]
	v_mov_b64_e32 v[6:7], v[4:5]
	s_or_b32 s4, vcc_lo, s4
	s_delay_alu instid0(SALU_CYCLE_1)
	s_and_not1_b32 exec_lo, exec_lo, s4
	s_cbranch_execnz .LBB3_37
.LBB3_38:
	s_or_b32 exec_lo, exec_lo, s6
	s_get_pc_i64 s[4:5]
	s_add_nc_u64 s[4:5], s[4:5], .str.11@rel64+4
	s_delay_alu instid0(SALU_CYCLE_1)
	s_cmp_lg_u64 s[4:5], 0
	s_cbranch_scc0 .LBB3_117
; %bb.39:
	v_mov_b64_e32 v[10:11], 0x100000002
	s_wait_loadcnt 0x0
	v_dual_mov_b32 v9, 0 :: v_dual_bitop2_b32 v28, 2, v2 bitop3:0x40
	v_dual_mov_b32 v5, v3 :: v_dual_bitop2_b32 v4, -3, v2 bitop3:0x40
	s_mov_b64 s[6:7], 39
	s_branch .LBB3_41
.LBB3_40:                               ;   in Loop: Header=BB3_41 Depth=1
	s_or_b32 exec_lo, exec_lo, s16
	s_sub_nc_u64 s[6:7], s[6:7], s[12:13]
	s_add_nc_u64 s[4:5], s[4:5], s[12:13]
	s_cmp_lg_u64 s[6:7], 0
	s_cbranch_scc0 .LBB3_116
.LBB3_41:                               ; =>This Loop Header: Depth=1
                                        ;     Child Loop BB3_44 Depth 2
                                        ;     Child Loop BB3_51 Depth 2
	;; [unrolled: 1-line block ×11, first 2 shown]
	v_min_u64 v[6:7], s[6:7], 56
	v_cmp_gt_u64_e64 s0, s[6:7], 7
	s_and_b32 vcc_lo, exec_lo, s0
	v_readfirstlane_b32 s12, v6
	v_readfirstlane_b32 s13, v7
	s_cbranch_vccnz .LBB3_46
; %bb.42:                               ;   in Loop: Header=BB3_41 Depth=1
	v_mov_b64_e32 v[6:7], 0
	s_cmp_eq_u64 s[6:7], 0
	s_cbranch_scc1 .LBB3_45
; %bb.43:                               ;   in Loop: Header=BB3_41 Depth=1
	s_mov_b64 s[0:1], 0
	s_mov_b64 s[14:15], 0
.LBB3_44:                               ;   Parent Loop BB3_41 Depth=1
                                        ; =>  This Inner Loop Header: Depth=2
	s_wait_xcnt 0x0
	s_add_nc_u64 s[16:17], s[4:5], s[14:15]
	s_add_nc_u64 s[14:15], s[14:15], 1
	global_load_u8 v1, v9, s[16:17]
	s_cmp_lg_u32 s12, s14
	s_wait_loadcnt 0x0
	v_and_b32_e32 v8, 0xffff, v1
	s_delay_alu instid0(VALU_DEP_1) | instskip(SKIP_1) | instid1(VALU_DEP_1)
	v_lshlrev_b64_e32 v[12:13], s0, v[8:9]
	s_add_nc_u64 s[0:1], s[0:1], 8
	v_or_b32_e32 v6, v12, v6
	s_delay_alu instid0(VALU_DEP_2)
	v_or_b32_e32 v7, v13, v7
	s_cbranch_scc1 .LBB3_44
.LBB3_45:                               ;   in Loop: Header=BB3_41 Depth=1
	s_mov_b64 s[14:15], s[4:5]
	s_mov_b32 s18, 0
	s_cbranch_execz .LBB3_47
	s_branch .LBB3_48
.LBB3_46:                               ;   in Loop: Header=BB3_41 Depth=1
	s_add_nc_u64 s[14:15], s[4:5], 8
	s_mov_b32 s18, 0
.LBB3_47:                               ;   in Loop: Header=BB3_41 Depth=1
	global_load_b64 v[6:7], v9, s[4:5]
	s_add_co_i32 s18, s12, -8
.LBB3_48:                               ;   in Loop: Header=BB3_41 Depth=1
	s_delay_alu instid0(SALU_CYCLE_1)
	s_cmp_gt_u32 s18, 7
	s_cbranch_scc1 .LBB3_53
; %bb.49:                               ;   in Loop: Header=BB3_41 Depth=1
	v_mov_b64_e32 v[12:13], 0
	s_cmp_eq_u32 s18, 0
	s_cbranch_scc1 .LBB3_52
; %bb.50:                               ;   in Loop: Header=BB3_41 Depth=1
	s_mov_b64 s[0:1], 0
	s_wait_xcnt 0x0
	s_mov_b64 s[16:17], 0
.LBB3_51:                               ;   Parent Loop BB3_41 Depth=1
                                        ; =>  This Inner Loop Header: Depth=2
	s_wait_xcnt 0x0
	s_add_nc_u64 s[20:21], s[14:15], s[16:17]
	s_add_nc_u64 s[16:17], s[16:17], 1
	global_load_u8 v1, v9, s[20:21]
	s_cmp_lg_u32 s18, s16
	s_wait_loadcnt 0x0
	v_and_b32_e32 v8, 0xffff, v1
	s_delay_alu instid0(VALU_DEP_1) | instskip(SKIP_1) | instid1(VALU_DEP_1)
	v_lshlrev_b64_e32 v[14:15], s0, v[8:9]
	s_add_nc_u64 s[0:1], s[0:1], 8
	v_or_b32_e32 v12, v14, v12
	s_delay_alu instid0(VALU_DEP_2)
	v_or_b32_e32 v13, v15, v13
	s_cbranch_scc1 .LBB3_51
.LBB3_52:                               ;   in Loop: Header=BB3_41 Depth=1
	s_wait_xcnt 0x0
	s_mov_b64 s[0:1], s[14:15]
	s_mov_b32 s19, 0
	s_cbranch_execz .LBB3_54
	s_branch .LBB3_55
.LBB3_53:                               ;   in Loop: Header=BB3_41 Depth=1
	s_add_nc_u64 s[0:1], s[14:15], 8
	s_wait_xcnt 0x0
                                        ; implicit-def: $vgpr12_vgpr13
	s_mov_b32 s19, 0
.LBB3_54:                               ;   in Loop: Header=BB3_41 Depth=1
	global_load_b64 v[12:13], v9, s[14:15]
	s_add_co_i32 s19, s18, -8
.LBB3_55:                               ;   in Loop: Header=BB3_41 Depth=1
	s_delay_alu instid0(SALU_CYCLE_1)
	s_cmp_gt_u32 s19, 7
	s_cbranch_scc1 .LBB3_60
; %bb.56:                               ;   in Loop: Header=BB3_41 Depth=1
	v_mov_b64_e32 v[14:15], 0
	s_cmp_eq_u32 s19, 0
	s_cbranch_scc1 .LBB3_59
; %bb.57:                               ;   in Loop: Header=BB3_41 Depth=1
	s_wait_xcnt 0x0
	s_mov_b64 s[14:15], 0
	s_mov_b64 s[16:17], 0
.LBB3_58:                               ;   Parent Loop BB3_41 Depth=1
                                        ; =>  This Inner Loop Header: Depth=2
	s_wait_xcnt 0x0
	s_add_nc_u64 s[20:21], s[0:1], s[16:17]
	s_add_nc_u64 s[16:17], s[16:17], 1
	global_load_u8 v1, v9, s[20:21]
	s_cmp_lg_u32 s19, s16
	s_wait_loadcnt 0x0
	v_and_b32_e32 v8, 0xffff, v1
	s_delay_alu instid0(VALU_DEP_1) | instskip(SKIP_1) | instid1(VALU_DEP_1)
	v_lshlrev_b64_e32 v[16:17], s14, v[8:9]
	s_add_nc_u64 s[14:15], s[14:15], 8
	v_or_b32_e32 v14, v16, v14
	s_delay_alu instid0(VALU_DEP_2)
	v_or_b32_e32 v15, v17, v15
	s_cbranch_scc1 .LBB3_58
.LBB3_59:                               ;   in Loop: Header=BB3_41 Depth=1
	s_wait_xcnt 0x0
	s_mov_b64 s[14:15], s[0:1]
	s_mov_b32 s18, 0
	s_cbranch_execz .LBB3_61
	s_branch .LBB3_62
.LBB3_60:                               ;   in Loop: Header=BB3_41 Depth=1
	s_wait_xcnt 0x0
	s_add_nc_u64 s[14:15], s[0:1], 8
	s_mov_b32 s18, 0
.LBB3_61:                               ;   in Loop: Header=BB3_41 Depth=1
	global_load_b64 v[14:15], v9, s[0:1]
	s_add_co_i32 s18, s19, -8
.LBB3_62:                               ;   in Loop: Header=BB3_41 Depth=1
	s_delay_alu instid0(SALU_CYCLE_1)
	s_cmp_gt_u32 s18, 7
	s_cbranch_scc1 .LBB3_67
; %bb.63:                               ;   in Loop: Header=BB3_41 Depth=1
	v_mov_b64_e32 v[16:17], 0
	s_cmp_eq_u32 s18, 0
	s_cbranch_scc1 .LBB3_66
; %bb.64:                               ;   in Loop: Header=BB3_41 Depth=1
	s_wait_xcnt 0x0
	s_mov_b64 s[0:1], 0
	s_mov_b64 s[16:17], 0
.LBB3_65:                               ;   Parent Loop BB3_41 Depth=1
                                        ; =>  This Inner Loop Header: Depth=2
	s_wait_xcnt 0x0
	s_add_nc_u64 s[20:21], s[14:15], s[16:17]
	s_add_nc_u64 s[16:17], s[16:17], 1
	global_load_u8 v1, v9, s[20:21]
	s_cmp_lg_u32 s18, s16
	s_wait_loadcnt 0x0
	v_and_b32_e32 v8, 0xffff, v1
	s_delay_alu instid0(VALU_DEP_1) | instskip(SKIP_1) | instid1(VALU_DEP_1)
	v_lshlrev_b64_e32 v[18:19], s0, v[8:9]
	s_add_nc_u64 s[0:1], s[0:1], 8
	v_or_b32_e32 v16, v18, v16
	s_delay_alu instid0(VALU_DEP_2)
	v_or_b32_e32 v17, v19, v17
	s_cbranch_scc1 .LBB3_65
.LBB3_66:                               ;   in Loop: Header=BB3_41 Depth=1
	s_wait_xcnt 0x0
	s_mov_b64 s[0:1], s[14:15]
	s_mov_b32 s19, 0
	s_cbranch_execz .LBB3_68
	s_branch .LBB3_69
.LBB3_67:                               ;   in Loop: Header=BB3_41 Depth=1
	s_wait_xcnt 0x0
	s_add_nc_u64 s[0:1], s[14:15], 8
                                        ; implicit-def: $vgpr16_vgpr17
	s_mov_b32 s19, 0
.LBB3_68:                               ;   in Loop: Header=BB3_41 Depth=1
	global_load_b64 v[16:17], v9, s[14:15]
	s_add_co_i32 s19, s18, -8
.LBB3_69:                               ;   in Loop: Header=BB3_41 Depth=1
	s_delay_alu instid0(SALU_CYCLE_1)
	s_cmp_gt_u32 s19, 7
	s_cbranch_scc1 .LBB3_74
; %bb.70:                               ;   in Loop: Header=BB3_41 Depth=1
	v_mov_b64_e32 v[18:19], 0
	s_cmp_eq_u32 s19, 0
	s_cbranch_scc1 .LBB3_73
; %bb.71:                               ;   in Loop: Header=BB3_41 Depth=1
	s_wait_xcnt 0x0
	s_mov_b64 s[14:15], 0
	s_mov_b64 s[16:17], 0
.LBB3_72:                               ;   Parent Loop BB3_41 Depth=1
                                        ; =>  This Inner Loop Header: Depth=2
	s_wait_xcnt 0x0
	s_add_nc_u64 s[20:21], s[0:1], s[16:17]
	s_add_nc_u64 s[16:17], s[16:17], 1
	global_load_u8 v1, v9, s[20:21]
	s_cmp_lg_u32 s19, s16
	s_wait_loadcnt 0x0
	v_and_b32_e32 v8, 0xffff, v1
	s_delay_alu instid0(VALU_DEP_1) | instskip(SKIP_1) | instid1(VALU_DEP_1)
	v_lshlrev_b64_e32 v[20:21], s14, v[8:9]
	s_add_nc_u64 s[14:15], s[14:15], 8
	v_or_b32_e32 v18, v20, v18
	s_delay_alu instid0(VALU_DEP_2)
	v_or_b32_e32 v19, v21, v19
	s_cbranch_scc1 .LBB3_72
.LBB3_73:                               ;   in Loop: Header=BB3_41 Depth=1
	s_wait_xcnt 0x0
	s_mov_b64 s[14:15], s[0:1]
	s_mov_b32 s18, 0
	s_cbranch_execz .LBB3_75
	s_branch .LBB3_76
.LBB3_74:                               ;   in Loop: Header=BB3_41 Depth=1
	s_wait_xcnt 0x0
	s_add_nc_u64 s[14:15], s[0:1], 8
	s_mov_b32 s18, 0
.LBB3_75:                               ;   in Loop: Header=BB3_41 Depth=1
	global_load_b64 v[18:19], v9, s[0:1]
	s_add_co_i32 s18, s19, -8
.LBB3_76:                               ;   in Loop: Header=BB3_41 Depth=1
	s_delay_alu instid0(SALU_CYCLE_1)
	s_cmp_gt_u32 s18, 7
	s_cbranch_scc1 .LBB3_81
; %bb.77:                               ;   in Loop: Header=BB3_41 Depth=1
	v_mov_b64_e32 v[20:21], 0
	s_cmp_eq_u32 s18, 0
	s_cbranch_scc1 .LBB3_80
; %bb.78:                               ;   in Loop: Header=BB3_41 Depth=1
	s_wait_xcnt 0x0
	s_mov_b64 s[0:1], 0
	s_mov_b64 s[16:17], 0
.LBB3_79:                               ;   Parent Loop BB3_41 Depth=1
                                        ; =>  This Inner Loop Header: Depth=2
	s_wait_xcnt 0x0
	s_add_nc_u64 s[20:21], s[14:15], s[16:17]
	s_add_nc_u64 s[16:17], s[16:17], 1
	global_load_u8 v1, v9, s[20:21]
	s_cmp_lg_u32 s18, s16
	s_wait_loadcnt 0x0
	v_and_b32_e32 v8, 0xffff, v1
	s_delay_alu instid0(VALU_DEP_1) | instskip(SKIP_1) | instid1(VALU_DEP_1)
	v_lshlrev_b64_e32 v[22:23], s0, v[8:9]
	s_add_nc_u64 s[0:1], s[0:1], 8
	v_or_b32_e32 v20, v22, v20
	s_delay_alu instid0(VALU_DEP_2)
	v_or_b32_e32 v21, v23, v21
	s_cbranch_scc1 .LBB3_79
.LBB3_80:                               ;   in Loop: Header=BB3_41 Depth=1
	s_wait_xcnt 0x0
	s_mov_b64 s[0:1], s[14:15]
	s_mov_b32 s19, 0
	s_cbranch_execz .LBB3_82
	s_branch .LBB3_83
.LBB3_81:                               ;   in Loop: Header=BB3_41 Depth=1
	s_wait_xcnt 0x0
	s_add_nc_u64 s[0:1], s[14:15], 8
                                        ; implicit-def: $vgpr20_vgpr21
	s_mov_b32 s19, 0
.LBB3_82:                               ;   in Loop: Header=BB3_41 Depth=1
	global_load_b64 v[20:21], v9, s[14:15]
	s_add_co_i32 s19, s18, -8
.LBB3_83:                               ;   in Loop: Header=BB3_41 Depth=1
	s_delay_alu instid0(SALU_CYCLE_1)
	s_cmp_gt_u32 s19, 7
	s_cbranch_scc1 .LBB3_88
; %bb.84:                               ;   in Loop: Header=BB3_41 Depth=1
	v_mov_b64_e32 v[22:23], 0
	s_cmp_eq_u32 s19, 0
	s_cbranch_scc1 .LBB3_87
; %bb.85:                               ;   in Loop: Header=BB3_41 Depth=1
	s_wait_xcnt 0x0
	s_mov_b64 s[14:15], 0
	s_mov_b64 s[16:17], s[0:1]
.LBB3_86:                               ;   Parent Loop BB3_41 Depth=1
                                        ; =>  This Inner Loop Header: Depth=2
	global_load_u8 v1, v9, s[16:17]
	s_add_co_i32 s19, s19, -1
	s_wait_xcnt 0x0
	s_add_nc_u64 s[16:17], s[16:17], 1
	s_cmp_lg_u32 s19, 0
	s_wait_loadcnt 0x0
	v_and_b32_e32 v8, 0xffff, v1
	s_delay_alu instid0(VALU_DEP_1) | instskip(SKIP_1) | instid1(VALU_DEP_1)
	v_lshlrev_b64_e32 v[24:25], s14, v[8:9]
	s_add_nc_u64 s[14:15], s[14:15], 8
	v_or_b32_e32 v22, v24, v22
	s_delay_alu instid0(VALU_DEP_2)
	v_or_b32_e32 v23, v25, v23
	s_cbranch_scc1 .LBB3_86
.LBB3_87:                               ;   in Loop: Header=BB3_41 Depth=1
	s_wait_xcnt 0x0
	s_cbranch_execz .LBB3_89
	s_branch .LBB3_90
.LBB3_88:                               ;   in Loop: Header=BB3_41 Depth=1
	s_wait_xcnt 0x0
.LBB3_89:                               ;   in Loop: Header=BB3_41 Depth=1
	global_load_b64 v[22:23], v9, s[0:1]
.LBB3_90:                               ;   in Loop: Header=BB3_41 Depth=1
	s_wait_xcnt 0x0
	v_readfirstlane_b32 s0, v29
	v_mov_b64_e32 v[30:31], 0
	s_delay_alu instid0(VALU_DEP_2)
	v_cmp_eq_u32_e64 s0, s0, v29
	s_and_saveexec_b32 s1, s0
	s_cbranch_execz .LBB3_96
; %bb.91:                               ;   in Loop: Header=BB3_41 Depth=1
	global_load_b64 v[26:27], v9, s[2:3] offset:24 scope:SCOPE_SYS
	s_wait_loadcnt 0x0
	global_inv scope:SCOPE_SYS
	s_clause 0x1
	global_load_b64 v[24:25], v9, s[2:3] offset:40
	global_load_b64 v[30:31], v9, s[2:3]
	s_mov_b32 s14, exec_lo
	s_wait_loadcnt 0x1
	v_and_b32_e32 v24, v24, v26
	v_and_b32_e32 v25, v25, v27
	s_delay_alu instid0(VALU_DEP_1) | instskip(SKIP_1) | instid1(VALU_DEP_1)
	v_mul_u64_e32 v[24:25], 24, v[24:25]
	s_wait_loadcnt 0x0
	v_add_nc_u64_e32 v[24:25], v[30:31], v[24:25]
	global_load_b64 v[24:25], v[24:25], off scope:SCOPE_SYS
	s_wait_xcnt 0x0
	s_wait_loadcnt 0x0
	global_atomic_cmpswap_b64 v[30:31], v9, v[24:27], s[2:3] offset:24 th:TH_ATOMIC_RETURN scope:SCOPE_SYS
	s_wait_loadcnt 0x0
	global_inv scope:SCOPE_SYS
	s_wait_xcnt 0x0
	v_cmpx_ne_u64_e64 v[30:31], v[26:27]
	s_cbranch_execz .LBB3_95
; %bb.92:                               ;   in Loop: Header=BB3_41 Depth=1
	s_mov_b32 s15, 0
.LBB3_93:                               ;   Parent Loop BB3_41 Depth=1
                                        ; =>  This Inner Loop Header: Depth=2
	s_sleep 1
	s_clause 0x1
	global_load_b64 v[24:25], v9, s[2:3] offset:40
	global_load_b64 v[32:33], v9, s[2:3]
	v_mov_b64_e32 v[26:27], v[30:31]
	s_wait_loadcnt 0x1
	s_delay_alu instid0(VALU_DEP_1) | instskip(SKIP_1) | instid1(VALU_DEP_1)
	v_and_b32_e32 v1, v24, v26
	s_wait_loadcnt 0x0
	v_mad_nc_u64_u32 v[30:31], v1, 24, v[32:33]
	s_delay_alu instid0(VALU_DEP_3) | instskip(NEXT) | instid1(VALU_DEP_1)
	v_and_b32_e32 v1, v25, v27
	v_mad_u32 v31, v1, 24, v31
	global_load_b64 v[24:25], v[30:31], off scope:SCOPE_SYS
	s_wait_xcnt 0x0
	s_wait_loadcnt 0x0
	global_atomic_cmpswap_b64 v[30:31], v9, v[24:27], s[2:3] offset:24 th:TH_ATOMIC_RETURN scope:SCOPE_SYS
	s_wait_loadcnt 0x0
	global_inv scope:SCOPE_SYS
	v_cmp_eq_u64_e32 vcc_lo, v[30:31], v[26:27]
	s_or_b32 s15, vcc_lo, s15
	s_wait_xcnt 0x0
	s_and_not1_b32 exec_lo, exec_lo, s15
	s_cbranch_execnz .LBB3_93
; %bb.94:                               ;   in Loop: Header=BB3_41 Depth=1
	s_or_b32 exec_lo, exec_lo, s15
.LBB3_95:                               ;   in Loop: Header=BB3_41 Depth=1
	s_delay_alu instid0(SALU_CYCLE_1)
	s_or_b32 exec_lo, exec_lo, s14
.LBB3_96:                               ;   in Loop: Header=BB3_41 Depth=1
	s_delay_alu instid0(SALU_CYCLE_1)
	s_or_b32 exec_lo, exec_lo, s1
	s_clause 0x1
	global_load_b64 v[32:33], v9, s[2:3] offset:40
	global_load_b128 v[24:27], v9, s[2:3]
	v_readfirstlane_b32 s14, v30
	v_readfirstlane_b32 s15, v31
	s_mov_b32 s1, exec_lo
	s_wait_loadcnt 0x1
	v_and_b32_e32 v32, s14, v32
	v_and_b32_e32 v33, s15, v33
	s_delay_alu instid0(VALU_DEP_1) | instskip(SKIP_1) | instid1(VALU_DEP_1)
	v_mul_u64_e32 v[30:31], 24, v[32:33]
	s_wait_loadcnt 0x0
	v_add_nc_u64_e32 v[30:31], v[24:25], v[30:31]
	s_wait_xcnt 0x0
	s_and_saveexec_b32 s16, s0
	s_cbranch_execz .LBB3_98
; %bb.97:                               ;   in Loop: Header=BB3_41 Depth=1
	v_mov_b32_e32 v8, s1
	global_store_b128 v[30:31], v[8:11], off offset:8
.LBB3_98:                               ;   in Loop: Header=BB3_41 Depth=1
	s_wait_xcnt 0x0
	s_or_b32 exec_lo, exec_lo, s16
	v_cmp_lt_u64_e64 vcc_lo, s[6:7], 57
	v_lshlrev_b64_e32 v[32:33], 12, v[32:33]
	v_and_b32_e32 v4, 0xffffff1f, v4
	s_lshl_b32 s1, s12, 2
	s_delay_alu instid0(SALU_CYCLE_1) | instskip(SKIP_1) | instid1(VALU_DEP_3)
	s_add_co_i32 s1, s1, 28
	v_cndmask_b32_e32 v1, 0, v28, vcc_lo
	v_add_nc_u64_e32 v[26:27], v[26:27], v[32:33]
	s_delay_alu instid0(VALU_DEP_2) | instskip(NEXT) | instid1(VALU_DEP_2)
	v_or_b32_e32 v1, v4, v1
	v_readfirstlane_b32 s16, v26
	s_delay_alu instid0(VALU_DEP_3) | instskip(NEXT) | instid1(VALU_DEP_3)
	v_readfirstlane_b32 s17, v27
	v_and_or_b32 v4, 0x1e0, s1, v1
	s_clause 0x3
	global_store_b128 v0, v[4:7], s[16:17]
	global_store_b128 v0, v[12:15], s[16:17] offset:16
	global_store_b128 v0, v[16:19], s[16:17] offset:32
	;; [unrolled: 1-line block ×3, first 2 shown]
	s_wait_xcnt 0x0
	s_and_saveexec_b32 s1, s0
	s_cbranch_execz .LBB3_106
; %bb.99:                               ;   in Loop: Header=BB3_41 Depth=1
	s_clause 0x1
	global_load_b64 v[16:17], v9, s[2:3] offset:32 scope:SCOPE_SYS
	global_load_b64 v[4:5], v9, s[2:3] offset:40
	s_mov_b32 s16, exec_lo
	v_dual_mov_b32 v14, s14 :: v_dual_mov_b32 v15, s15
	s_wait_loadcnt 0x0
	v_and_b32_e32 v5, s15, v5
	v_and_b32_e32 v4, s14, v4
	s_delay_alu instid0(VALU_DEP_1) | instskip(NEXT) | instid1(VALU_DEP_1)
	v_mul_u64_e32 v[4:5], 24, v[4:5]
	v_add_nc_u64_e32 v[12:13], v[24:25], v[4:5]
	global_store_b64 v[12:13], v[16:17], off
	global_wb scope:SCOPE_SYS
	s_wait_storecnt 0x0
	s_wait_xcnt 0x0
	global_atomic_cmpswap_b64 v[6:7], v9, v[14:17], s[2:3] offset:32 th:TH_ATOMIC_RETURN scope:SCOPE_SYS
	s_wait_loadcnt 0x0
	v_cmpx_ne_u64_e64 v[6:7], v[16:17]
	s_cbranch_execz .LBB3_102
; %bb.100:                              ;   in Loop: Header=BB3_41 Depth=1
	s_mov_b32 s17, 0
.LBB3_101:                              ;   Parent Loop BB3_41 Depth=1
                                        ; =>  This Inner Loop Header: Depth=2
	v_dual_mov_b32 v4, s14 :: v_dual_mov_b32 v5, s15
	s_sleep 1
	global_store_b64 v[12:13], v[6:7], off
	global_wb scope:SCOPE_SYS
	s_wait_storecnt 0x0
	s_wait_xcnt 0x0
	global_atomic_cmpswap_b64 v[4:5], v9, v[4:7], s[2:3] offset:32 th:TH_ATOMIC_RETURN scope:SCOPE_SYS
	s_wait_loadcnt 0x0
	v_cmp_eq_u64_e32 vcc_lo, v[4:5], v[6:7]
	v_mov_b64_e32 v[6:7], v[4:5]
	s_or_b32 s17, vcc_lo, s17
	s_delay_alu instid0(SALU_CYCLE_1)
	s_and_not1_b32 exec_lo, exec_lo, s17
	s_cbranch_execnz .LBB3_101
.LBB3_102:                              ;   in Loop: Header=BB3_41 Depth=1
	s_or_b32 exec_lo, exec_lo, s16
	global_load_b64 v[4:5], v9, s[2:3] offset:16
	s_mov_b32 s17, exec_lo
	s_mov_b32 s16, exec_lo
	v_mbcnt_lo_u32_b32 v1, s17, 0
	s_wait_xcnt 0x0
	s_delay_alu instid0(VALU_DEP_1)
	v_cmpx_eq_u32_e32 0, v1
	s_cbranch_execz .LBB3_104
; %bb.103:                              ;   in Loop: Header=BB3_41 Depth=1
	s_bcnt1_i32_b32 s17, s17
	s_delay_alu instid0(SALU_CYCLE_1)
	v_mov_b32_e32 v8, s17
	global_wb scope:SCOPE_SYS
	s_wait_loadcnt 0x0
	s_wait_storecnt 0x0
	global_atomic_add_u64 v[4:5], v[8:9], off offset:8 scope:SCOPE_SYS
.LBB3_104:                              ;   in Loop: Header=BB3_41 Depth=1
	s_wait_xcnt 0x0
	s_or_b32 exec_lo, exec_lo, s16
	s_wait_loadcnt 0x0
	global_load_b64 v[6:7], v[4:5], off offset:16
	s_wait_loadcnt 0x0
	v_cmp_eq_u64_e32 vcc_lo, 0, v[6:7]
	s_cbranch_vccnz .LBB3_106
; %bb.105:                              ;   in Loop: Header=BB3_41 Depth=1
	global_load_b32 v8, v[4:5], off offset:24
	s_wait_loadcnt 0x0
	v_readfirstlane_b32 s16, v8
	global_wb scope:SCOPE_SYS
	s_wait_storecnt 0x0
	s_wait_xcnt 0x0
	global_store_b64 v[6:7], v[8:9], off scope:SCOPE_SYS
	s_and_b32 m0, s16, 0xffffff
	s_sendmsg sendmsg(MSG_INTERRUPT)
.LBB3_106:                              ;   in Loop: Header=BB3_41 Depth=1
	s_wait_xcnt 0x0
	s_or_b32 exec_lo, exec_lo, s1
	v_mov_b32_e32 v1, v9
	s_delay_alu instid0(VALU_DEP_1)
	v_add_nc_u64_e32 v[4:5], v[26:27], v[0:1]
	s_branch .LBB3_110
.LBB3_107:                              ;   in Loop: Header=BB3_110 Depth=2
	s_wait_xcnt 0x0
	s_or_b32 exec_lo, exec_lo, s1
	s_delay_alu instid0(VALU_DEP_1)
	v_readfirstlane_b32 s1, v1
	s_cmp_eq_u32 s1, 0
	s_cbranch_scc1 .LBB3_109
; %bb.108:                              ;   in Loop: Header=BB3_110 Depth=2
	s_sleep 1
	s_cbranch_execnz .LBB3_110
	s_branch .LBB3_112
.LBB3_109:                              ;   in Loop: Header=BB3_41 Depth=1
	s_branch .LBB3_112
.LBB3_110:                              ;   Parent Loop BB3_41 Depth=1
                                        ; =>  This Inner Loop Header: Depth=2
	v_mov_b32_e32 v1, 1
	s_and_saveexec_b32 s1, s0
	s_cbranch_execz .LBB3_107
; %bb.111:                              ;   in Loop: Header=BB3_110 Depth=2
	global_load_b32 v1, v[30:31], off offset:20 scope:SCOPE_SYS
	s_wait_loadcnt 0x0
	global_inv scope:SCOPE_SYS
	v_and_b32_e32 v1, 1, v1
	s_branch .LBB3_107
.LBB3_112:                              ;   in Loop: Header=BB3_41 Depth=1
	global_load_b64 v[4:5], v[4:5], off
	s_wait_xcnt 0x0
	s_and_saveexec_b32 s16, s0
	s_cbranch_execz .LBB3_40
; %bb.113:                              ;   in Loop: Header=BB3_41 Depth=1
	s_clause 0x2
	global_load_b64 v[6:7], v9, s[2:3] offset:40
	global_load_b64 v[16:17], v9, s[2:3] offset:24 scope:SCOPE_SYS
	global_load_b64 v[12:13], v9, s[2:3]
	s_wait_loadcnt 0x2
	v_readfirstlane_b32 s18, v6
	v_readfirstlane_b32 s19, v7
	s_add_nc_u64 s[0:1], s[18:19], 1
	s_delay_alu instid0(SALU_CYCLE_1) | instskip(NEXT) | instid1(SALU_CYCLE_1)
	s_add_nc_u64 s[14:15], s[0:1], s[14:15]
	s_cmp_eq_u64 s[14:15], 0
	s_cselect_b32 s1, s1, s15
	s_cselect_b32 s0, s0, s14
	s_delay_alu instid0(SALU_CYCLE_1) | instskip(SKIP_1) | instid1(SALU_CYCLE_1)
	v_dual_mov_b32 v15, s1 :: v_dual_mov_b32 v14, s0
	s_and_b64 s[14:15], s[0:1], s[18:19]
	s_mul_u64 s[14:15], s[14:15], 24
	s_wait_loadcnt 0x0
	v_add_nc_u64_e32 v[6:7], s[14:15], v[12:13]
	global_store_b64 v[6:7], v[16:17], off
	global_wb scope:SCOPE_SYS
	s_wait_storecnt 0x0
	s_wait_xcnt 0x0
	global_atomic_cmpswap_b64 v[14:15], v9, v[14:17], s[2:3] offset:24 th:TH_ATOMIC_RETURN scope:SCOPE_SYS
	s_wait_loadcnt 0x0
	v_cmp_ne_u64_e32 vcc_lo, v[14:15], v[16:17]
	s_and_b32 exec_lo, exec_lo, vcc_lo
	s_cbranch_execz .LBB3_40
; %bb.114:                              ;   in Loop: Header=BB3_41 Depth=1
	s_mov_b32 s14, 0
.LBB3_115:                              ;   Parent Loop BB3_41 Depth=1
                                        ; =>  This Inner Loop Header: Depth=2
	v_dual_mov_b32 v12, s0 :: v_dual_mov_b32 v13, s1
	s_sleep 1
	global_store_b64 v[6:7], v[14:15], off
	global_wb scope:SCOPE_SYS
	s_wait_storecnt 0x0
	s_wait_xcnt 0x0
	global_atomic_cmpswap_b64 v[12:13], v9, v[12:15], s[2:3] offset:24 th:TH_ATOMIC_RETURN scope:SCOPE_SYS
	s_wait_loadcnt 0x0
	v_cmp_eq_u64_e32 vcc_lo, v[12:13], v[14:15]
	v_mov_b64_e32 v[14:15], v[12:13]
	s_or_b32 s14, vcc_lo, s14
	s_delay_alu instid0(SALU_CYCLE_1)
	s_and_not1_b32 exec_lo, exec_lo, s14
	s_cbranch_execnz .LBB3_115
	s_branch .LBB3_40
.LBB3_116:
	s_branch .LBB3_145
.LBB3_117:
                                        ; implicit-def: $vgpr4_vgpr5
	s_cbranch_execz .LBB3_145
; %bb.118:
	v_readfirstlane_b32 s0, v29
	s_wait_loadcnt 0x0
	v_mov_b64_e32 v[4:5], 0
	s_delay_alu instid0(VALU_DEP_2)
	v_cmp_eq_u32_e64 s0, s0, v29
	s_and_saveexec_b32 s1, s0
	s_cbranch_execz .LBB3_124
; %bb.119:
	v_mov_b32_e32 v1, 0
	s_mov_b32 s4, exec_lo
	global_load_b64 v[6:7], v1, s[2:3] offset:24 scope:SCOPE_SYS
	s_wait_loadcnt 0x0
	global_inv scope:SCOPE_SYS
	s_clause 0x1
	global_load_b64 v[4:5], v1, s[2:3] offset:40
	global_load_b64 v[8:9], v1, s[2:3]
	s_wait_loadcnt 0x1
	v_and_b32_e32 v4, v4, v6
	v_and_b32_e32 v5, v5, v7
	s_delay_alu instid0(VALU_DEP_1) | instskip(SKIP_1) | instid1(VALU_DEP_1)
	v_mul_u64_e32 v[4:5], 24, v[4:5]
	s_wait_loadcnt 0x0
	v_add_nc_u64_e32 v[4:5], v[8:9], v[4:5]
	global_load_b64 v[4:5], v[4:5], off scope:SCOPE_SYS
	s_wait_xcnt 0x0
	s_wait_loadcnt 0x0
	global_atomic_cmpswap_b64 v[4:5], v1, v[4:7], s[2:3] offset:24 th:TH_ATOMIC_RETURN scope:SCOPE_SYS
	s_wait_loadcnt 0x0
	global_inv scope:SCOPE_SYS
	s_wait_xcnt 0x0
	v_cmpx_ne_u64_e64 v[4:5], v[6:7]
	s_cbranch_execz .LBB3_123
; %bb.120:
	s_mov_b32 s5, 0
.LBB3_121:                              ; =>This Inner Loop Header: Depth=1
	s_sleep 1
	s_clause 0x1
	global_load_b64 v[8:9], v1, s[2:3] offset:40
	global_load_b64 v[10:11], v1, s[2:3]
	v_mov_b64_e32 v[6:7], v[4:5]
	s_wait_loadcnt 0x1
	s_delay_alu instid0(VALU_DEP_1) | instskip(NEXT) | instid1(VALU_DEP_2)
	v_and_b32_e32 v4, v8, v6
	v_and_b32_e32 v8, v9, v7
	s_wait_loadcnt 0x0
	s_delay_alu instid0(VALU_DEP_2) | instskip(NEXT) | instid1(VALU_DEP_1)
	v_mad_nc_u64_u32 v[4:5], v4, 24, v[10:11]
	v_mad_u32 v5, v8, 24, v5
	global_load_b64 v[4:5], v[4:5], off scope:SCOPE_SYS
	s_wait_xcnt 0x0
	s_wait_loadcnt 0x0
	global_atomic_cmpswap_b64 v[4:5], v1, v[4:7], s[2:3] offset:24 th:TH_ATOMIC_RETURN scope:SCOPE_SYS
	s_wait_loadcnt 0x0
	global_inv scope:SCOPE_SYS
	v_cmp_eq_u64_e32 vcc_lo, v[4:5], v[6:7]
	s_or_b32 s5, vcc_lo, s5
	s_wait_xcnt 0x0
	s_and_not1_b32 exec_lo, exec_lo, s5
	s_cbranch_execnz .LBB3_121
; %bb.122:
	s_or_b32 exec_lo, exec_lo, s5
.LBB3_123:
	s_delay_alu instid0(SALU_CYCLE_1)
	s_or_b32 exec_lo, exec_lo, s4
.LBB3_124:
	s_delay_alu instid0(SALU_CYCLE_1)
	s_or_b32 exec_lo, exec_lo, s1
	v_readfirstlane_b32 s4, v4
	v_mov_b32_e32 v1, 0
	v_readfirstlane_b32 s5, v5
	s_mov_b32 s1, exec_lo
	s_clause 0x1
	global_load_b64 v[10:11], v1, s[2:3] offset:40
	global_load_b128 v[6:9], v1, s[2:3]
	s_wait_loadcnt 0x1
	v_and_b32_e32 v4, s4, v10
	v_and_b32_e32 v5, s5, v11
	s_delay_alu instid0(VALU_DEP_1) | instskip(SKIP_1) | instid1(VALU_DEP_1)
	v_mul_u64_e32 v[10:11], 24, v[4:5]
	s_wait_loadcnt 0x0
	v_add_nc_u64_e32 v[10:11], v[6:7], v[10:11]
	s_wait_xcnt 0x0
	s_and_saveexec_b32 s6, s0
	s_cbranch_execz .LBB3_126
; %bb.125:
	v_mov_b64_e32 v[14:15], 0x100000002
	v_dual_mov_b32 v12, s1 :: v_dual_mov_b32 v13, v1
	global_store_b128 v[10:11], v[12:15], off offset:8
.LBB3_126:
	s_wait_xcnt 0x0
	s_or_b32 exec_lo, exec_lo, s6
	v_lshlrev_b64_e32 v[4:5], 12, v[4:5]
	s_mov_b32 s12, 0
	v_and_or_b32 v2, 0xffffff1f, v2, 32
	s_mov_b32 s13, s12
	s_mov_b32 s14, s12
	;; [unrolled: 1-line block ×3, first 2 shown]
	v_mov_b64_e32 v[12:13], s[12:13]
	v_add_nc_u64_e32 v[8:9], v[8:9], v[4:5]
	v_mov_b64_e32 v[14:15], s[14:15]
	v_dual_mov_b32 v4, v1 :: v_dual_mov_b32 v5, v1
	s_delay_alu instid0(VALU_DEP_3) | instskip(NEXT) | instid1(VALU_DEP_4)
	v_readfirstlane_b32 s6, v8
	v_readfirstlane_b32 s7, v9
	s_clause 0x3
	global_store_b128 v0, v[2:5], s[6:7]
	global_store_b128 v0, v[12:15], s[6:7] offset:16
	global_store_b128 v0, v[12:15], s[6:7] offset:32
	;; [unrolled: 1-line block ×3, first 2 shown]
	s_wait_xcnt 0x0
	s_and_saveexec_b32 s1, s0
	s_cbranch_execz .LBB3_134
; %bb.127:
	v_dual_mov_b32 v12, 0 :: v_dual_mov_b32 v15, s5
	s_mov_b32 s6, exec_lo
	s_clause 0x1
	global_load_b64 v[16:17], v12, s[2:3] offset:32 scope:SCOPE_SYS
	global_load_b64 v[2:3], v12, s[2:3] offset:40
	s_wait_loadcnt 0x0
	v_dual_mov_b32 v14, s4 :: v_dual_bitop2_b32 v3, s5, v3 bitop3:0x40
	v_and_b32_e32 v2, s4, v2
	s_delay_alu instid0(VALU_DEP_1) | instskip(NEXT) | instid1(VALU_DEP_1)
	v_mul_u64_e32 v[2:3], 24, v[2:3]
	v_add_nc_u64_e32 v[6:7], v[6:7], v[2:3]
	global_store_b64 v[6:7], v[16:17], off
	global_wb scope:SCOPE_SYS
	s_wait_storecnt 0x0
	s_wait_xcnt 0x0
	global_atomic_cmpswap_b64 v[4:5], v12, v[14:17], s[2:3] offset:32 th:TH_ATOMIC_RETURN scope:SCOPE_SYS
	s_wait_loadcnt 0x0
	v_cmpx_ne_u64_e64 v[4:5], v[16:17]
	s_cbranch_execz .LBB3_130
; %bb.128:
	s_mov_b32 s7, 0
.LBB3_129:                              ; =>This Inner Loop Header: Depth=1
	v_dual_mov_b32 v2, s4 :: v_dual_mov_b32 v3, s5
	s_sleep 1
	global_store_b64 v[6:7], v[4:5], off
	global_wb scope:SCOPE_SYS
	s_wait_storecnt 0x0
	s_wait_xcnt 0x0
	global_atomic_cmpswap_b64 v[2:3], v12, v[2:5], s[2:3] offset:32 th:TH_ATOMIC_RETURN scope:SCOPE_SYS
	s_wait_loadcnt 0x0
	v_cmp_eq_u64_e32 vcc_lo, v[2:3], v[4:5]
	v_mov_b64_e32 v[4:5], v[2:3]
	s_or_b32 s7, vcc_lo, s7
	s_delay_alu instid0(SALU_CYCLE_1)
	s_and_not1_b32 exec_lo, exec_lo, s7
	s_cbranch_execnz .LBB3_129
.LBB3_130:
	s_or_b32 exec_lo, exec_lo, s6
	v_mov_b32_e32 v5, 0
	s_mov_b32 s7, exec_lo
	s_mov_b32 s6, exec_lo
	v_mbcnt_lo_u32_b32 v4, s7, 0
	global_load_b64 v[2:3], v5, s[2:3] offset:16
	s_wait_xcnt 0x0
	v_cmpx_eq_u32_e32 0, v4
	s_cbranch_execz .LBB3_132
; %bb.131:
	s_bcnt1_i32_b32 s7, s7
	s_delay_alu instid0(SALU_CYCLE_1)
	v_mov_b32_e32 v4, s7
	global_wb scope:SCOPE_SYS
	s_wait_loadcnt 0x0
	s_wait_storecnt 0x0
	global_atomic_add_u64 v[2:3], v[4:5], off offset:8 scope:SCOPE_SYS
.LBB3_132:
	s_wait_xcnt 0x0
	s_or_b32 exec_lo, exec_lo, s6
	s_wait_loadcnt 0x0
	global_load_b64 v[4:5], v[2:3], off offset:16
	s_wait_loadcnt 0x0
	v_cmp_eq_u64_e32 vcc_lo, 0, v[4:5]
	s_cbranch_vccnz .LBB3_134
; %bb.133:
	global_load_b32 v2, v[2:3], off offset:24
	s_wait_xcnt 0x0
	v_mov_b32_e32 v3, 0
	s_wait_loadcnt 0x0
	v_readfirstlane_b32 s6, v2
	global_wb scope:SCOPE_SYS
	s_wait_storecnt 0x0
	global_store_b64 v[4:5], v[2:3], off scope:SCOPE_SYS
	s_and_b32 m0, s6, 0xffffff
	s_sendmsg sendmsg(MSG_INTERRUPT)
.LBB3_134:
	s_wait_xcnt 0x0
	s_or_b32 exec_lo, exec_lo, s1
	v_add_nc_u64_e32 v[2:3], v[8:9], v[0:1]
	s_branch .LBB3_138
.LBB3_135:                              ;   in Loop: Header=BB3_138 Depth=1
	s_wait_xcnt 0x0
	s_or_b32 exec_lo, exec_lo, s1
	s_delay_alu instid0(VALU_DEP_1)
	v_readfirstlane_b32 s1, v1
	s_cmp_eq_u32 s1, 0
	s_cbranch_scc1 .LBB3_137
; %bb.136:                              ;   in Loop: Header=BB3_138 Depth=1
	s_sleep 1
	s_cbranch_execnz .LBB3_138
	s_branch .LBB3_140
.LBB3_137:
	s_branch .LBB3_140
.LBB3_138:                              ; =>This Inner Loop Header: Depth=1
	v_mov_b32_e32 v1, 1
	s_and_saveexec_b32 s1, s0
	s_cbranch_execz .LBB3_135
; %bb.139:                              ;   in Loop: Header=BB3_138 Depth=1
	global_load_b32 v1, v[10:11], off offset:20 scope:SCOPE_SYS
	s_wait_loadcnt 0x0
	global_inv scope:SCOPE_SYS
	v_and_b32_e32 v1, 1, v1
	s_branch .LBB3_135
.LBB3_140:
	global_load_b64 v[4:5], v[2:3], off
	s_wait_xcnt 0x0
	s_and_saveexec_b32 s6, s0
	s_cbranch_execz .LBB3_144
; %bb.141:
	v_mov_b32_e32 v1, 0
	s_clause 0x2
	global_load_b64 v[2:3], v1, s[2:3] offset:40
	global_load_b64 v[10:11], v1, s[2:3] offset:24 scope:SCOPE_SYS
	global_load_b64 v[6:7], v1, s[2:3]
	s_wait_loadcnt 0x2
	v_readfirstlane_b32 s12, v2
	v_readfirstlane_b32 s13, v3
	s_add_nc_u64 s[0:1], s[12:13], 1
	s_delay_alu instid0(SALU_CYCLE_1) | instskip(NEXT) | instid1(SALU_CYCLE_1)
	s_add_nc_u64 s[4:5], s[0:1], s[4:5]
	s_cmp_eq_u64 s[4:5], 0
	s_cselect_b32 s1, s1, s5
	s_cselect_b32 s0, s0, s4
	v_mov_b32_e32 v9, s1
	s_and_b64 s[4:5], s[0:1], s[12:13]
	v_mov_b32_e32 v8, s0
	s_mul_u64 s[4:5], s[4:5], 24
	s_wait_loadcnt 0x0
	v_add_nc_u64_e32 v[2:3], s[4:5], v[6:7]
	global_store_b64 v[2:3], v[10:11], off
	global_wb scope:SCOPE_SYS
	s_wait_storecnt 0x0
	s_wait_xcnt 0x0
	global_atomic_cmpswap_b64 v[8:9], v1, v[8:11], s[2:3] offset:24 th:TH_ATOMIC_RETURN scope:SCOPE_SYS
	s_wait_loadcnt 0x0
	v_cmp_ne_u64_e32 vcc_lo, v[8:9], v[10:11]
	s_and_b32 exec_lo, exec_lo, vcc_lo
	s_cbranch_execz .LBB3_144
; %bb.142:
	s_mov_b32 s4, 0
.LBB3_143:                              ; =>This Inner Loop Header: Depth=1
	v_dual_mov_b32 v6, s0 :: v_dual_mov_b32 v7, s1
	s_sleep 1
	global_store_b64 v[2:3], v[8:9], off
	global_wb scope:SCOPE_SYS
	s_wait_storecnt 0x0
	s_wait_xcnt 0x0
	global_atomic_cmpswap_b64 v[6:7], v1, v[6:9], s[2:3] offset:24 th:TH_ATOMIC_RETURN scope:SCOPE_SYS
	s_wait_loadcnt 0x0
	v_cmp_eq_u64_e32 vcc_lo, v[6:7], v[8:9]
	v_mov_b64_e32 v[8:9], v[6:7]
	s_or_b32 s4, vcc_lo, s4
	s_delay_alu instid0(SALU_CYCLE_1)
	s_and_not1_b32 exec_lo, exec_lo, s4
	s_cbranch_execnz .LBB3_143
.LBB3_144:
	s_or_b32 exec_lo, exec_lo, s6
.LBB3_145:
	v_readfirstlane_b32 s0, v29
	s_wait_loadcnt 0x0
	v_mov_b64_e32 v[2:3], 0
	s_delay_alu instid0(VALU_DEP_2)
	v_cmp_eq_u32_e64 s0, s0, v29
	s_and_saveexec_b32 s1, s0
	s_cbranch_execz .LBB3_151
; %bb.146:
	v_mov_b32_e32 v1, 0
	s_mov_b32 s4, exec_lo
	global_load_b64 v[8:9], v1, s[2:3] offset:24 scope:SCOPE_SYS
	s_wait_loadcnt 0x0
	global_inv scope:SCOPE_SYS
	s_clause 0x1
	global_load_b64 v[2:3], v1, s[2:3] offset:40
	global_load_b64 v[6:7], v1, s[2:3]
	s_wait_loadcnt 0x1
	v_and_b32_e32 v2, v2, v8
	v_and_b32_e32 v3, v3, v9
	s_delay_alu instid0(VALU_DEP_1) | instskip(SKIP_1) | instid1(VALU_DEP_1)
	v_mul_u64_e32 v[2:3], 24, v[2:3]
	s_wait_loadcnt 0x0
	v_add_nc_u64_e32 v[2:3], v[6:7], v[2:3]
	global_load_b64 v[6:7], v[2:3], off scope:SCOPE_SYS
	s_wait_xcnt 0x0
	s_wait_loadcnt 0x0
	global_atomic_cmpswap_b64 v[2:3], v1, v[6:9], s[2:3] offset:24 th:TH_ATOMIC_RETURN scope:SCOPE_SYS
	s_wait_loadcnt 0x0
	global_inv scope:SCOPE_SYS
	s_wait_xcnt 0x0
	v_cmpx_ne_u64_e64 v[2:3], v[8:9]
	s_cbranch_execz .LBB3_150
; %bb.147:
	s_mov_b32 s5, 0
.LBB3_148:                              ; =>This Inner Loop Header: Depth=1
	s_sleep 1
	s_clause 0x1
	global_load_b64 v[6:7], v1, s[2:3] offset:40
	global_load_b64 v[10:11], v1, s[2:3]
	v_mov_b64_e32 v[8:9], v[2:3]
	s_wait_loadcnt 0x1
	s_delay_alu instid0(VALU_DEP_1) | instskip(NEXT) | instid1(VALU_DEP_2)
	v_and_b32_e32 v2, v6, v8
	v_and_b32_e32 v6, v7, v9
	s_wait_loadcnt 0x0
	s_delay_alu instid0(VALU_DEP_2) | instskip(NEXT) | instid1(VALU_DEP_1)
	v_mad_nc_u64_u32 v[2:3], v2, 24, v[10:11]
	v_mad_u32 v3, v6, 24, v3
	global_load_b64 v[6:7], v[2:3], off scope:SCOPE_SYS
	s_wait_xcnt 0x0
	s_wait_loadcnt 0x0
	global_atomic_cmpswap_b64 v[2:3], v1, v[6:9], s[2:3] offset:24 th:TH_ATOMIC_RETURN scope:SCOPE_SYS
	s_wait_loadcnt 0x0
	global_inv scope:SCOPE_SYS
	v_cmp_eq_u64_e32 vcc_lo, v[2:3], v[8:9]
	s_or_b32 s5, vcc_lo, s5
	s_wait_xcnt 0x0
	s_and_not1_b32 exec_lo, exec_lo, s5
	s_cbranch_execnz .LBB3_148
; %bb.149:
	s_or_b32 exec_lo, exec_lo, s5
.LBB3_150:
	s_delay_alu instid0(SALU_CYCLE_1)
	s_or_b32 exec_lo, exec_lo, s4
.LBB3_151:
	s_delay_alu instid0(SALU_CYCLE_1)
	s_or_b32 exec_lo, exec_lo, s1
	v_readfirstlane_b32 s4, v2
	v_mov_b32_e32 v1, 0
	v_readfirstlane_b32 s5, v3
	s_mov_b32 s1, exec_lo
	s_clause 0x1
	global_load_b64 v[6:7], v1, s[2:3] offset:40
	global_load_b128 v[8:11], v1, s[2:3]
	s_wait_loadcnt 0x1
	v_and_b32_e32 v2, s4, v6
	v_and_b32_e32 v3, s5, v7
	s_delay_alu instid0(VALU_DEP_1) | instskip(SKIP_1) | instid1(VALU_DEP_1)
	v_mul_u64_e32 v[6:7], 24, v[2:3]
	s_wait_loadcnt 0x0
	v_add_nc_u64_e32 v[12:13], v[8:9], v[6:7]
	s_wait_xcnt 0x0
	s_and_saveexec_b32 s6, s0
	s_cbranch_execz .LBB3_153
; %bb.152:
	v_mov_b64_e32 v[16:17], 0x100000002
	v_dual_mov_b32 v14, s1 :: v_dual_mov_b32 v15, v1
	global_store_b128 v[12:13], v[14:17], off offset:8
.LBB3_153:
	s_wait_xcnt 0x0
	s_or_b32 exec_lo, exec_lo, s6
	v_lshlrev_b64_e32 v[2:3], 12, v[2:3]
	s_mov_b32 s12, 0
	v_and_or_b32 v4, 0xffffff1f, v4, 32
	s_mov_b32 s14, s12
	s_mov_b32 s15, s12
	;; [unrolled: 1-line block ×3, first 2 shown]
	v_mov_b64_e32 v[16:17], s[14:15]
	v_add_nc_u64_e32 v[10:11], v[10:11], v[2:3]
	v_mov_b64_e32 v[14:15], s[12:13]
	v_dual_mov_b32 v6, s10 :: v_dual_mov_b32 v7, s11
	s_delay_alu instid0(VALU_DEP_3) | instskip(NEXT) | instid1(VALU_DEP_4)
	v_readfirstlane_b32 s6, v10
	v_readfirstlane_b32 s7, v11
	s_clause 0x3
	global_store_b128 v0, v[4:7], s[6:7]
	global_store_b128 v0, v[14:17], s[6:7] offset:16
	global_store_b128 v0, v[14:17], s[6:7] offset:32
	;; [unrolled: 1-line block ×3, first 2 shown]
	s_wait_xcnt 0x0
	s_and_saveexec_b32 s1, s0
	s_cbranch_execz .LBB3_161
; %bb.154:
	v_dual_mov_b32 v14, 0 :: v_dual_mov_b32 v17, s5
	s_mov_b32 s6, exec_lo
	s_clause 0x1
	global_load_b64 v[18:19], v14, s[2:3] offset:32 scope:SCOPE_SYS
	global_load_b64 v[2:3], v14, s[2:3] offset:40
	s_wait_loadcnt 0x0
	v_dual_mov_b32 v16, s4 :: v_dual_bitop2_b32 v3, s5, v3 bitop3:0x40
	v_and_b32_e32 v2, s4, v2
	s_delay_alu instid0(VALU_DEP_1) | instskip(NEXT) | instid1(VALU_DEP_1)
	v_mul_u64_e32 v[2:3], 24, v[2:3]
	v_add_nc_u64_e32 v[6:7], v[8:9], v[2:3]
	global_store_b64 v[6:7], v[18:19], off
	global_wb scope:SCOPE_SYS
	s_wait_storecnt 0x0
	s_wait_xcnt 0x0
	global_atomic_cmpswap_b64 v[4:5], v14, v[16:19], s[2:3] offset:32 th:TH_ATOMIC_RETURN scope:SCOPE_SYS
	s_wait_loadcnt 0x0
	v_cmpx_ne_u64_e64 v[4:5], v[18:19]
	s_cbranch_execz .LBB3_157
; %bb.155:
	s_mov_b32 s7, 0
.LBB3_156:                              ; =>This Inner Loop Header: Depth=1
	v_dual_mov_b32 v2, s4 :: v_dual_mov_b32 v3, s5
	s_sleep 1
	global_store_b64 v[6:7], v[4:5], off
	global_wb scope:SCOPE_SYS
	s_wait_storecnt 0x0
	s_wait_xcnt 0x0
	global_atomic_cmpswap_b64 v[2:3], v14, v[2:5], s[2:3] offset:32 th:TH_ATOMIC_RETURN scope:SCOPE_SYS
	s_wait_loadcnt 0x0
	v_cmp_eq_u64_e32 vcc_lo, v[2:3], v[4:5]
	v_mov_b64_e32 v[4:5], v[2:3]
	s_or_b32 s7, vcc_lo, s7
	s_delay_alu instid0(SALU_CYCLE_1)
	s_and_not1_b32 exec_lo, exec_lo, s7
	s_cbranch_execnz .LBB3_156
.LBB3_157:
	s_or_b32 exec_lo, exec_lo, s6
	v_mov_b32_e32 v5, 0
	s_mov_b32 s7, exec_lo
	s_mov_b32 s6, exec_lo
	v_mbcnt_lo_u32_b32 v4, s7, 0
	global_load_b64 v[2:3], v5, s[2:3] offset:16
	s_wait_xcnt 0x0
	v_cmpx_eq_u32_e32 0, v4
	s_cbranch_execz .LBB3_159
; %bb.158:
	s_bcnt1_i32_b32 s7, s7
	s_delay_alu instid0(SALU_CYCLE_1)
	v_mov_b32_e32 v4, s7
	global_wb scope:SCOPE_SYS
	s_wait_loadcnt 0x0
	s_wait_storecnt 0x0
	global_atomic_add_u64 v[2:3], v[4:5], off offset:8 scope:SCOPE_SYS
.LBB3_159:
	s_wait_xcnt 0x0
	s_or_b32 exec_lo, exec_lo, s6
	s_wait_loadcnt 0x0
	global_load_b64 v[4:5], v[2:3], off offset:16
	s_wait_loadcnt 0x0
	v_cmp_eq_u64_e32 vcc_lo, 0, v[4:5]
	s_cbranch_vccnz .LBB3_161
; %bb.160:
	global_load_b32 v2, v[2:3], off offset:24
	s_wait_xcnt 0x0
	v_mov_b32_e32 v3, 0
	s_wait_loadcnt 0x0
	v_readfirstlane_b32 s6, v2
	global_wb scope:SCOPE_SYS
	s_wait_storecnt 0x0
	global_store_b64 v[4:5], v[2:3], off scope:SCOPE_SYS
	s_and_b32 m0, s6, 0xffffff
	s_sendmsg sendmsg(MSG_INTERRUPT)
.LBB3_161:
	s_wait_xcnt 0x0
	s_or_b32 exec_lo, exec_lo, s1
	v_add_nc_u64_e32 v[2:3], v[10:11], v[0:1]
	s_branch .LBB3_165
.LBB3_162:                              ;   in Loop: Header=BB3_165 Depth=1
	s_wait_xcnt 0x0
	s_or_b32 exec_lo, exec_lo, s1
	s_delay_alu instid0(VALU_DEP_1)
	v_readfirstlane_b32 s1, v1
	s_cmp_eq_u32 s1, 0
	s_cbranch_scc1 .LBB3_164
; %bb.163:                              ;   in Loop: Header=BB3_165 Depth=1
	s_sleep 1
	s_cbranch_execnz .LBB3_165
	s_branch .LBB3_167
.LBB3_164:
	s_branch .LBB3_167
.LBB3_165:                              ; =>This Inner Loop Header: Depth=1
	v_mov_b32_e32 v1, 1
	s_and_saveexec_b32 s1, s0
	s_cbranch_execz .LBB3_162
; %bb.166:                              ;   in Loop: Header=BB3_165 Depth=1
	global_load_b32 v1, v[12:13], off offset:20 scope:SCOPE_SYS
	s_wait_loadcnt 0x0
	global_inv scope:SCOPE_SYS
	v_and_b32_e32 v1, 1, v1
	s_branch .LBB3_162
.LBB3_167:
	global_load_b64 v[2:3], v[2:3], off
	s_wait_xcnt 0x0
	s_and_saveexec_b32 s6, s0
	s_cbranch_execz .LBB3_171
; %bb.168:
	v_mov_b32_e32 v1, 0
	s_clause 0x2
	global_load_b64 v[4:5], v1, s[2:3] offset:40
	global_load_b64 v[12:13], v1, s[2:3] offset:24 scope:SCOPE_SYS
	global_load_b64 v[6:7], v1, s[2:3]
	s_wait_loadcnt 0x2
	v_readfirstlane_b32 s10, v4
	v_readfirstlane_b32 s11, v5
	s_add_nc_u64 s[0:1], s[10:11], 1
	s_delay_alu instid0(SALU_CYCLE_1) | instskip(NEXT) | instid1(SALU_CYCLE_1)
	s_add_nc_u64 s[4:5], s[0:1], s[4:5]
	s_cmp_eq_u64 s[4:5], 0
	s_cselect_b32 s1, s1, s5
	s_cselect_b32 s0, s0, s4
	v_mov_b32_e32 v11, s1
	s_and_b64 s[4:5], s[0:1], s[10:11]
	v_mov_b32_e32 v10, s0
	s_mul_u64 s[4:5], s[4:5], 24
	s_wait_loadcnt 0x0
	v_add_nc_u64_e32 v[8:9], s[4:5], v[6:7]
	global_store_b64 v[8:9], v[12:13], off
	global_wb scope:SCOPE_SYS
	s_wait_storecnt 0x0
	s_wait_xcnt 0x0
	global_atomic_cmpswap_b64 v[6:7], v1, v[10:13], s[2:3] offset:24 th:TH_ATOMIC_RETURN scope:SCOPE_SYS
	s_wait_loadcnt 0x0
	v_cmp_ne_u64_e32 vcc_lo, v[6:7], v[12:13]
	s_and_b32 exec_lo, exec_lo, vcc_lo
	s_cbranch_execz .LBB3_171
; %bb.169:
	s_mov_b32 s4, 0
.LBB3_170:                              ; =>This Inner Loop Header: Depth=1
	v_dual_mov_b32 v4, s0 :: v_dual_mov_b32 v5, s1
	s_sleep 1
	global_store_b64 v[8:9], v[6:7], off
	global_wb scope:SCOPE_SYS
	s_wait_storecnt 0x0
	s_wait_xcnt 0x0
	global_atomic_cmpswap_b64 v[4:5], v1, v[4:7], s[2:3] offset:24 th:TH_ATOMIC_RETURN scope:SCOPE_SYS
	s_wait_loadcnt 0x0
	v_cmp_eq_u64_e32 vcc_lo, v[4:5], v[6:7]
	v_mov_b64_e32 v[6:7], v[4:5]
	s_or_b32 s4, vcc_lo, s4
	s_delay_alu instid0(SALU_CYCLE_1)
	s_and_not1_b32 exec_lo, exec_lo, s4
	s_cbranch_execnz .LBB3_170
.LBB3_171:
	s_or_b32 exec_lo, exec_lo, s6
	v_readfirstlane_b32 s0, v29
	v_mov_b64_e32 v[4:5], 0
	s_delay_alu instid0(VALU_DEP_2)
	v_cmp_eq_u32_e64 s0, s0, v29
	s_and_saveexec_b32 s1, s0
	s_cbranch_execz .LBB3_177
; %bb.172:
	v_mov_b32_e32 v1, 0
	s_mov_b32 s4, exec_lo
	global_load_b64 v[6:7], v1, s[2:3] offset:24 scope:SCOPE_SYS
	s_wait_loadcnt 0x0
	global_inv scope:SCOPE_SYS
	s_clause 0x1
	global_load_b64 v[4:5], v1, s[2:3] offset:40
	global_load_b64 v[8:9], v1, s[2:3]
	s_wait_loadcnt 0x1
	v_and_b32_e32 v4, v4, v6
	v_and_b32_e32 v5, v5, v7
	s_delay_alu instid0(VALU_DEP_1) | instskip(SKIP_1) | instid1(VALU_DEP_1)
	v_mul_u64_e32 v[4:5], 24, v[4:5]
	s_wait_loadcnt 0x0
	v_add_nc_u64_e32 v[4:5], v[8:9], v[4:5]
	global_load_b64 v[4:5], v[4:5], off scope:SCOPE_SYS
	s_wait_xcnt 0x0
	s_wait_loadcnt 0x0
	global_atomic_cmpswap_b64 v[4:5], v1, v[4:7], s[2:3] offset:24 th:TH_ATOMIC_RETURN scope:SCOPE_SYS
	s_wait_loadcnt 0x0
	global_inv scope:SCOPE_SYS
	s_wait_xcnt 0x0
	v_cmpx_ne_u64_e64 v[4:5], v[6:7]
	s_cbranch_execz .LBB3_176
; %bb.173:
	s_mov_b32 s5, 0
.LBB3_174:                              ; =>This Inner Loop Header: Depth=1
	s_sleep 1
	s_clause 0x1
	global_load_b64 v[8:9], v1, s[2:3] offset:40
	global_load_b64 v[10:11], v1, s[2:3]
	v_mov_b64_e32 v[6:7], v[4:5]
	s_wait_loadcnt 0x1
	s_delay_alu instid0(VALU_DEP_1) | instskip(NEXT) | instid1(VALU_DEP_2)
	v_and_b32_e32 v4, v8, v6
	v_and_b32_e32 v8, v9, v7
	s_wait_loadcnt 0x0
	s_delay_alu instid0(VALU_DEP_2) | instskip(NEXT) | instid1(VALU_DEP_1)
	v_mad_nc_u64_u32 v[4:5], v4, 24, v[10:11]
	v_mad_u32 v5, v8, 24, v5
	global_load_b64 v[4:5], v[4:5], off scope:SCOPE_SYS
	s_wait_xcnt 0x0
	s_wait_loadcnt 0x0
	global_atomic_cmpswap_b64 v[4:5], v1, v[4:7], s[2:3] offset:24 th:TH_ATOMIC_RETURN scope:SCOPE_SYS
	s_wait_loadcnt 0x0
	global_inv scope:SCOPE_SYS
	v_cmp_eq_u64_e32 vcc_lo, v[4:5], v[6:7]
	s_or_b32 s5, vcc_lo, s5
	s_wait_xcnt 0x0
	s_and_not1_b32 exec_lo, exec_lo, s5
	s_cbranch_execnz .LBB3_174
; %bb.175:
	s_or_b32 exec_lo, exec_lo, s5
.LBB3_176:
	s_delay_alu instid0(SALU_CYCLE_1)
	s_or_b32 exec_lo, exec_lo, s4
.LBB3_177:
	s_delay_alu instid0(SALU_CYCLE_1)
	s_or_b32 exec_lo, exec_lo, s1
	v_readfirstlane_b32 s4, v4
	v_mov_b32_e32 v11, 0
	v_readfirstlane_b32 s5, v5
	s_mov_b32 s1, exec_lo
	s_clause 0x1
	global_load_b64 v[12:13], v11, s[2:3] offset:40
	global_load_b128 v[6:9], v11, s[2:3]
	s_wait_loadcnt 0x1
	v_and_b32_e32 v4, s4, v12
	v_and_b32_e32 v5, s5, v13
	s_delay_alu instid0(VALU_DEP_1) | instskip(SKIP_1) | instid1(VALU_DEP_1)
	v_mul_u64_e32 v[12:13], 24, v[4:5]
	s_wait_loadcnt 0x0
	v_add_nc_u64_e32 v[14:15], v[6:7], v[12:13]
	s_wait_xcnt 0x0
	s_and_saveexec_b32 s6, s0
	s_cbranch_execz .LBB3_179
; %bb.178:
	v_mov_b64_e32 v[12:13], 0x100000002
	v_mov_b32_e32 v10, s1
	global_store_b128 v[14:15], v[10:13], off offset:8
.LBB3_179:
	s_wait_xcnt 0x0
	s_or_b32 exec_lo, exec_lo, s6
	v_lshlrev_b64_e32 v[4:5], 12, v[4:5]
	v_and_or_b32 v2, 0xffffff1d, v2, 34
	s_delay_alu instid0(VALU_DEP_2) | instskip(SKIP_2) | instid1(SALU_CYCLE_1)
	v_add_nc_u64_e32 v[8:9], v[8:9], v[4:5]
	v_dual_mov_b32 v4, s8 :: v_dual_mov_b32 v5, s9
	s_mov_b32 s8, 0
	s_mov_b32 s9, s8
	;; [unrolled: 1-line block ×4, first 2 shown]
	s_delay_alu instid0(VALU_DEP_2)
	v_readfirstlane_b32 s6, v8
	v_readfirstlane_b32 s7, v9
	v_mov_b64_e32 v[8:9], s[8:9]
	v_mov_b64_e32 v[10:11], s[10:11]
	s_clause 0x3
	global_store_b128 v0, v[2:5], s[6:7]
	global_store_b128 v0, v[8:11], s[6:7] offset:16
	global_store_b128 v0, v[8:11], s[6:7] offset:32
	;; [unrolled: 1-line block ×3, first 2 shown]
	s_wait_xcnt 0x0
	s_and_saveexec_b32 s1, s0
	s_cbranch_execz .LBB3_187
; %bb.180:
	v_dual_mov_b32 v8, 0 :: v_dual_mov_b32 v11, s5
	s_mov_b32 s6, exec_lo
	s_clause 0x1
	global_load_b64 v[12:13], v8, s[2:3] offset:32 scope:SCOPE_SYS
	global_load_b64 v[0:1], v8, s[2:3] offset:40
	s_wait_loadcnt 0x0
	v_dual_mov_b32 v10, s4 :: v_dual_bitop2_b32 v1, s5, v1 bitop3:0x40
	v_and_b32_e32 v0, s4, v0
	s_delay_alu instid0(VALU_DEP_1) | instskip(NEXT) | instid1(VALU_DEP_1)
	v_mul_u64_e32 v[0:1], 24, v[0:1]
	v_add_nc_u64_e32 v[4:5], v[6:7], v[0:1]
	global_store_b64 v[4:5], v[12:13], off
	global_wb scope:SCOPE_SYS
	s_wait_storecnt 0x0
	s_wait_xcnt 0x0
	global_atomic_cmpswap_b64 v[2:3], v8, v[10:13], s[2:3] offset:32 th:TH_ATOMIC_RETURN scope:SCOPE_SYS
	s_wait_loadcnt 0x0
	v_cmpx_ne_u64_e64 v[2:3], v[12:13]
	s_cbranch_execz .LBB3_183
; %bb.181:
	s_mov_b32 s7, 0
.LBB3_182:                              ; =>This Inner Loop Header: Depth=1
	v_dual_mov_b32 v0, s4 :: v_dual_mov_b32 v1, s5
	s_sleep 1
	global_store_b64 v[4:5], v[2:3], off
	global_wb scope:SCOPE_SYS
	s_wait_storecnt 0x0
	s_wait_xcnt 0x0
	global_atomic_cmpswap_b64 v[0:1], v8, v[0:3], s[2:3] offset:32 th:TH_ATOMIC_RETURN scope:SCOPE_SYS
	s_wait_loadcnt 0x0
	v_cmp_eq_u64_e32 vcc_lo, v[0:1], v[2:3]
	v_mov_b64_e32 v[2:3], v[0:1]
	s_or_b32 s7, vcc_lo, s7
	s_delay_alu instid0(SALU_CYCLE_1)
	s_and_not1_b32 exec_lo, exec_lo, s7
	s_cbranch_execnz .LBB3_182
.LBB3_183:
	s_or_b32 exec_lo, exec_lo, s6
	v_mov_b32_e32 v3, 0
	s_mov_b32 s7, exec_lo
	s_mov_b32 s6, exec_lo
	v_mbcnt_lo_u32_b32 v2, s7, 0
	global_load_b64 v[0:1], v3, s[2:3] offset:16
	s_wait_xcnt 0x0
	v_cmpx_eq_u32_e32 0, v2
	s_cbranch_execz .LBB3_185
; %bb.184:
	s_bcnt1_i32_b32 s7, s7
	s_delay_alu instid0(SALU_CYCLE_1)
	v_mov_b32_e32 v2, s7
	global_wb scope:SCOPE_SYS
	s_wait_loadcnt 0x0
	s_wait_storecnt 0x0
	global_atomic_add_u64 v[0:1], v[2:3], off offset:8 scope:SCOPE_SYS
.LBB3_185:
	s_wait_xcnt 0x0
	s_or_b32 exec_lo, exec_lo, s6
	s_wait_loadcnt 0x0
	global_load_b64 v[2:3], v[0:1], off offset:16
	s_wait_loadcnt 0x0
	v_cmp_eq_u64_e32 vcc_lo, 0, v[2:3]
	s_cbranch_vccnz .LBB3_187
; %bb.186:
	global_load_b32 v0, v[0:1], off offset:24
	s_wait_xcnt 0x0
	v_mov_b32_e32 v1, 0
	s_wait_loadcnt 0x0
	v_readfirstlane_b32 s6, v0
	global_wb scope:SCOPE_SYS
	s_wait_storecnt 0x0
	global_store_b64 v[2:3], v[0:1], off scope:SCOPE_SYS
	s_and_b32 m0, s6, 0xffffff
	s_sendmsg sendmsg(MSG_INTERRUPT)
.LBB3_187:
	s_wait_xcnt 0x0
	s_or_b32 exec_lo, exec_lo, s1
	s_branch .LBB3_191
.LBB3_188:                              ;   in Loop: Header=BB3_191 Depth=1
	s_wait_xcnt 0x0
	s_or_b32 exec_lo, exec_lo, s1
	s_delay_alu instid0(VALU_DEP_1)
	v_readfirstlane_b32 s1, v0
	s_cmp_eq_u32 s1, 0
	s_cbranch_scc1 .LBB3_190
; %bb.189:                              ;   in Loop: Header=BB3_191 Depth=1
	s_sleep 1
	s_cbranch_execnz .LBB3_191
	s_branch .LBB3_193
.LBB3_190:
	s_branch .LBB3_193
.LBB3_191:                              ; =>This Inner Loop Header: Depth=1
	v_mov_b32_e32 v0, 1
	s_and_saveexec_b32 s1, s0
	s_cbranch_execz .LBB3_188
; %bb.192:                              ;   in Loop: Header=BB3_191 Depth=1
	global_load_b32 v0, v[14:15], off offset:20 scope:SCOPE_SYS
	s_wait_loadcnt 0x0
	global_inv scope:SCOPE_SYS
	v_and_b32_e32 v0, 1, v0
	s_branch .LBB3_188
.LBB3_193:
	s_and_saveexec_b32 s1, s0
	s_cbranch_execz .LBB3_197
; %bb.194:
	v_mov_b32_e32 v6, 0
	s_clause 0x2
	global_load_b64 v[0:1], v6, s[2:3] offset:40
	global_load_b64 v[10:11], v6, s[2:3] offset:24 scope:SCOPE_SYS
	global_load_b64 v[2:3], v6, s[2:3]
	s_wait_loadcnt 0x2
	v_readfirstlane_b32 s6, v0
	v_readfirstlane_b32 s7, v1
	s_add_nc_u64 s[0:1], s[6:7], 1
	s_delay_alu instid0(SALU_CYCLE_1) | instskip(NEXT) | instid1(SALU_CYCLE_1)
	s_add_nc_u64 s[4:5], s[0:1], s[4:5]
	s_cmp_eq_u64 s[4:5], 0
	s_cselect_b32 s1, s1, s5
	s_cselect_b32 s0, s0, s4
	v_mov_b32_e32 v9, s1
	s_and_b64 s[4:5], s[0:1], s[6:7]
	v_mov_b32_e32 v8, s0
	s_mul_u64 s[4:5], s[4:5], 24
	s_wait_loadcnt 0x0
	v_add_nc_u64_e32 v[4:5], s[4:5], v[2:3]
	global_store_b64 v[4:5], v[10:11], off
	global_wb scope:SCOPE_SYS
	s_wait_storecnt 0x0
	s_wait_xcnt 0x0
	global_atomic_cmpswap_b64 v[2:3], v6, v[8:11], s[2:3] offset:24 th:TH_ATOMIC_RETURN scope:SCOPE_SYS
	s_wait_loadcnt 0x0
	v_cmp_ne_u64_e32 vcc_lo, v[2:3], v[10:11]
	s_and_b32 exec_lo, exec_lo, vcc_lo
	s_cbranch_execz .LBB3_197
; %bb.195:
	s_mov_b32 s4, 0
.LBB3_196:                              ; =>This Inner Loop Header: Depth=1
	v_dual_mov_b32 v0, s0 :: v_dual_mov_b32 v1, s1
	s_sleep 1
	global_store_b64 v[4:5], v[2:3], off
	global_wb scope:SCOPE_SYS
	s_wait_storecnt 0x0
	s_wait_xcnt 0x0
	global_atomic_cmpswap_b64 v[0:1], v6, v[0:3], s[2:3] offset:24 th:TH_ATOMIC_RETURN scope:SCOPE_SYS
	s_wait_loadcnt 0x0
	v_cmp_eq_u64_e32 vcc_lo, v[0:1], v[2:3]
	v_mov_b64_e32 v[2:3], v[0:1]
	s_or_b32 s4, vcc_lo, s4
	s_delay_alu instid0(SALU_CYCLE_1)
	s_and_not1_b32 exec_lo, exec_lo, s4
	s_cbranch_execnz .LBB3_196
.LBB3_197:
	s_endpgm
	.section	.rodata,"a",@progbits
	.p2align	6, 0x0
	.amdhsa_kernel _Z9printMffcPiS_S_PKiS1_iii
		.amdhsa_group_segment_fixed_size 0
		.amdhsa_private_segment_fixed_size 0
		.amdhsa_kernarg_size 312
		.amdhsa_user_sgpr_count 2
		.amdhsa_user_sgpr_dispatch_ptr 0
		.amdhsa_user_sgpr_queue_ptr 0
		.amdhsa_user_sgpr_kernarg_segment_ptr 1
		.amdhsa_user_sgpr_dispatch_id 0
		.amdhsa_user_sgpr_kernarg_preload_length 0
		.amdhsa_user_sgpr_kernarg_preload_offset 0
		.amdhsa_user_sgpr_private_segment_size 0
		.amdhsa_wavefront_size32 1
		.amdhsa_uses_dynamic_stack 0
		.amdhsa_enable_private_segment 0
		.amdhsa_system_sgpr_workgroup_id_x 1
		.amdhsa_system_sgpr_workgroup_id_y 0
		.amdhsa_system_sgpr_workgroup_id_z 0
		.amdhsa_system_sgpr_workgroup_info 0
		.amdhsa_system_vgpr_workitem_id 0
		.amdhsa_next_free_vgpr 34
		.amdhsa_next_free_sgpr 22
		.amdhsa_named_barrier_count 0
		.amdhsa_reserve_vcc 1
		.amdhsa_float_round_mode_32 0
		.amdhsa_float_round_mode_16_64 0
		.amdhsa_float_denorm_mode_32 3
		.amdhsa_float_denorm_mode_16_64 3
		.amdhsa_fp16_overflow 0
		.amdhsa_memory_ordered 1
		.amdhsa_forward_progress 1
		.amdhsa_inst_pref_size 68
		.amdhsa_round_robin_scheduling 0
		.amdhsa_exception_fp_ieee_invalid_op 0
		.amdhsa_exception_fp_denorm_src 0
		.amdhsa_exception_fp_ieee_div_zero 0
		.amdhsa_exception_fp_ieee_overflow 0
		.amdhsa_exception_fp_ieee_underflow 0
		.amdhsa_exception_fp_ieee_inexact 0
		.amdhsa_exception_int_div_zero 0
	.end_amdhsa_kernel
	.text
.Lfunc_end3:
	.size	_Z9printMffcPiS_S_PKiS1_iii, .Lfunc_end3-_Z9printMffcPiS_S_PKiS1_iii
                                        ; -- End function
	.set _Z9printMffcPiS_S_PKiS1_iii.num_vgpr, 34
	.set _Z9printMffcPiS_S_PKiS1_iii.num_agpr, 0
	.set _Z9printMffcPiS_S_PKiS1_iii.numbered_sgpr, 22
	.set _Z9printMffcPiS_S_PKiS1_iii.num_named_barrier, 0
	.set _Z9printMffcPiS_S_PKiS1_iii.private_seg_size, 0
	.set _Z9printMffcPiS_S_PKiS1_iii.uses_vcc, 1
	.set _Z9printMffcPiS_S_PKiS1_iii.uses_flat_scratch, 0
	.set _Z9printMffcPiS_S_PKiS1_iii.has_dyn_sized_stack, 0
	.set _Z9printMffcPiS_S_PKiS1_iii.has_recursion, 0
	.set _Z9printMffcPiS_S_PKiS1_iii.has_indirect_call, 0
	.section	.AMDGPU.csdata,"",@progbits
; Kernel info:
; codeLenInByte = 8632
; TotalNumSgprs: 24
; NumVgprs: 34
; ScratchSize: 0
; MemoryBound: 0
; FloatMode: 240
; IeeeMode: 1
; LDSByteSize: 0 bytes/workgroup (compile time only)
; SGPRBlocks: 0
; VGPRBlocks: 2
; NumSGPRsForWavesPerEU: 24
; NumVGPRsForWavesPerEU: 34
; NamedBarCnt: 0
; Occupancy: 16
; WaveLimiterHint : 1
; COMPUTE_PGM_RSRC2:SCRATCH_EN: 0
; COMPUTE_PGM_RSRC2:USER_SGPR: 2
; COMPUTE_PGM_RSRC2:TRAP_HANDLER: 0
; COMPUTE_PGM_RSRC2:TGID_X_EN: 1
; COMPUTE_PGM_RSRC2:TGID_Y_EN: 0
; COMPUTE_PGM_RSRC2:TGID_Z_EN: 0
; COMPUTE_PGM_RSRC2:TIDIG_COMP_CNT: 0
	.text
	.p2alignl 7, 3214868480
	.fill 96, 4, 3214868480
	.section	.AMDGPU.gpr_maximums,"",@progbits
	.set amdgpu.max_num_vgpr, 38
	.set amdgpu.max_num_agpr, 0
	.set amdgpu.max_num_sgpr, 32
	.text
	.type	.str,@object                    ; @.str
	.section	.rodata.str1.1,"aMS",@progbits,1
.str:
	.asciz	"id\tfanin0\tfanin1\n"
	.size	.str, 18

	.type	.str.1,@object                  ; @.str.1
.str.1:
	.asciz	"%d\t"
	.size	.str.1, 4

	.type	.str.2,@object                  ; @.str.2
.str.2:
	.asciz	"%s%d\t"
	.size	.str.2, 6

	.type	.str.3,@object                  ; @.str.3
.str.3:
	.asciz	"!"
	.size	.str.3, 2

	.type	.str.4,@object                  ; @.str.4
.str.4:
	.zero	1
	.size	.str.4, 1

	.type	.str.5,@object                  ; @.str.5
.str.5:
	.asciz	"%s%d\n"
	.size	.str.5, 6

	.type	.str.6,@object                  ; @.str.6
.str.6:
	.asciz	"-------AIG-------\n"
	.size	.str.6, 19

	.type	.str.7,@object                  ; @.str.7
.str.7:
	.asciz	"%d\n"
	.size	.str.7, 4

	.type	.str.8,@object                  ; @.str.8
.str.8:
	.asciz	"---POs---\n"
	.size	.str.8, 11

	.type	.str.9,@object                  ; @.str.9
.str.9:
	.asciz	"#nodes = %d\n"
	.size	.str.9, 13

	.type	.str.10,@object                 ; @.str.10
.str.10:
	.asciz	"-----------------\n"
	.size	.str.10, 19

	.type	.str.11,@object                 ; @.str.11
.str.11:
	.asciz	"Too small cone: %d, too large cut: %d\n"
	.size	.str.11, 39

	.type	__hip_cuid_3029fc39157cec03,@object ; @__hip_cuid_3029fc39157cec03
	.section	.bss,"aw",@nobits
	.globl	__hip_cuid_3029fc39157cec03
__hip_cuid_3029fc39157cec03:
	.byte	0                               ; 0x0
	.size	__hip_cuid_3029fc39157cec03, 1

	.ident	"AMD clang version 22.0.0git (https://github.com/RadeonOpenCompute/llvm-project roc-7.2.4 26084 f58b06dce1f9c15707c5f808fd002e18c2accf7e)"
	.section	".note.GNU-stack","",@progbits
	.addrsig
	.addrsig_sym __hip_cuid_3029fc39157cec03
	.amdgpu_metadata
---
amdhsa.kernels:
  - .args:
      - .address_space:  global
        .offset:         0
        .size:           8
        .value_kind:     global_buffer
      - .address_space:  global
        .offset:         8
        .size:           8
        .value_kind:     global_buffer
      - .address_space:  global
        .offset:         16
        .size:           8
        .value_kind:     global_buffer
      - .offset:         24
        .size:           4
        .value_kind:     by_value
      - .offset:         28
        .size:           4
        .value_kind:     by_value
      - .offset:         32
        .size:           4
        .value_kind:     by_value
      - .offset:         40
        .size:           4
        .value_kind:     hidden_block_count_x
      - .offset:         44
        .size:           4
        .value_kind:     hidden_block_count_y
      - .offset:         48
        .size:           4
        .value_kind:     hidden_block_count_z
      - .offset:         52
        .size:           2
        .value_kind:     hidden_group_size_x
      - .offset:         54
        .size:           2
        .value_kind:     hidden_group_size_y
      - .offset:         56
        .size:           2
        .value_kind:     hidden_group_size_z
      - .offset:         58
        .size:           2
        .value_kind:     hidden_remainder_x
      - .offset:         60
        .size:           2
        .value_kind:     hidden_remainder_y
      - .offset:         62
        .size:           2
        .value_kind:     hidden_remainder_z
      - .offset:         80
        .size:           8
        .value_kind:     hidden_global_offset_x
      - .offset:         88
        .size:           8
        .value_kind:     hidden_global_offset_y
      - .offset:         96
        .size:           8
        .value_kind:     hidden_global_offset_z
      - .offset:         104
        .size:           2
        .value_kind:     hidden_grid_dims
      - .offset:         120
        .size:           8
        .value_kind:     hidden_hostcall_buffer
    .group_segment_fixed_size: 0
    .kernarg_segment_align: 8
    .kernarg_segment_size: 296
    .language:       OpenCL C
    .language_version:
      - 2
      - 0
    .max_flat_workgroup_size: 1024
    .name:           _Z9printAIGAPKiS0_S0_iii
    .private_segment_fixed_size: 0
    .sgpr_count:     52
    .sgpr_spill_count: 0
    .symbol:         _Z9printAIGAPKiS0_S0_iii.kd
    .uniform_work_group_size: 1
    .uses_dynamic_stack: false
    .vgpr_count:     47
    .vgpr_spill_count: 0
    .wavefront_size: 32
  - .args:
      - .address_space:  global
        .offset:         0
        .size:           8
        .value_kind:     global_buffer
      - .address_space:  global
        .offset:         8
        .size:           8
        .value_kind:     global_buffer
      - .address_space:  global
        .offset:         16
        .size:           8
        .value_kind:     global_buffer
      - .offset:         24
        .size:           4
        .value_kind:     by_value
      - .offset:         28
        .size:           4
        .value_kind:     by_value
      - .offset:         32
        .size:           4
        .value_kind:     by_value
      - .offset:         40
        .size:           4
        .value_kind:     hidden_block_count_x
      - .offset:         44
        .size:           4
        .value_kind:     hidden_block_count_y
      - .offset:         48
        .size:           4
        .value_kind:     hidden_block_count_z
      - .offset:         52
        .size:           2
        .value_kind:     hidden_group_size_x
      - .offset:         54
        .size:           2
        .value_kind:     hidden_group_size_y
      - .offset:         56
        .size:           2
        .value_kind:     hidden_group_size_z
      - .offset:         58
        .size:           2
        .value_kind:     hidden_remainder_x
      - .offset:         60
        .size:           2
        .value_kind:     hidden_remainder_y
      - .offset:         62
        .size:           2
        .value_kind:     hidden_remainder_z
      - .offset:         80
        .size:           8
        .value_kind:     hidden_global_offset_x
      - .offset:         88
        .size:           8
        .value_kind:     hidden_global_offset_y
      - .offset:         96
        .size:           8
        .value_kind:     hidden_global_offset_z
      - .offset:         104
        .size:           2
        .value_kind:     hidden_grid_dims
      - .offset:         120
        .size:           8
        .value_kind:     hidden_hostcall_buffer
    .group_segment_fixed_size: 0
    .kernarg_segment_align: 8
    .kernarg_segment_size: 296
    .language:       OpenCL C
    .language_version:
      - 2
      - 0
    .max_flat_workgroup_size: 1024
    .name:           _Z8printAIGPKiS0_S0_iii
    .private_segment_fixed_size: 0
    .sgpr_count:     54
    .sgpr_spill_count: 0
    .symbol:         _Z8printAIGPKiS0_S0_iii.kd
    .uniform_work_group_size: 1
    .uses_dynamic_stack: false
    .vgpr_count:     47
    .vgpr_spill_count: 0
    .wavefront_size: 32
  - .args:
      - .address_space:  global
        .offset:         0
        .size:           8
        .value_kind:     global_buffer
      - .address_space:  global
        .offset:         8
        .size:           8
        .value_kind:     global_buffer
      - .address_space:  global
        .offset:         16
        .size:           8
        .value_kind:     global_buffer
      - .address_space:  global
        .offset:         24
        .size:           8
        .value_kind:     global_buffer
      - .address_space:  global
        .offset:         32
        .size:           8
        .value_kind:     global_buffer
      - .offset:         40
        .size:           4
        .value_kind:     by_value
      - .offset:         44
        .size:           4
        .value_kind:     by_value
      - .offset:         48
        .size:           4
        .value_kind:     by_value
      - .offset:         56
        .size:           4
        .value_kind:     hidden_block_count_x
      - .offset:         60
        .size:           4
        .value_kind:     hidden_block_count_y
      - .offset:         64
        .size:           4
        .value_kind:     hidden_block_count_z
      - .offset:         68
        .size:           2
        .value_kind:     hidden_group_size_x
      - .offset:         70
        .size:           2
        .value_kind:     hidden_group_size_y
      - .offset:         72
        .size:           2
        .value_kind:     hidden_group_size_z
      - .offset:         74
        .size:           2
        .value_kind:     hidden_remainder_x
      - .offset:         76
        .size:           2
        .value_kind:     hidden_remainder_y
      - .offset:         78
        .size:           2
        .value_kind:     hidden_remainder_z
      - .offset:         96
        .size:           8
        .value_kind:     hidden_global_offset_x
      - .offset:         104
        .size:           8
        .value_kind:     hidden_global_offset_y
      - .offset:         112
        .size:           8
        .value_kind:     hidden_global_offset_z
      - .offset:         120
        .size:           2
        .value_kind:     hidden_grid_dims
      - .offset:         136
        .size:           8
        .value_kind:     hidden_hostcall_buffer
    .group_segment_fixed_size: 0
    .kernarg_segment_align: 8
    .kernarg_segment_size: 312
    .language:       OpenCL C
    .language_version:
      - 2
      - 0
    .max_flat_workgroup_size: 1024
    .name:           _Z9printMffcPiS_S_PKiS1_iii
    .private_segment_fixed_size: 0
    .sgpr_count:     24
    .sgpr_spill_count: 0
    .symbol:         _Z9printMffcPiS_S_PKiS1_iii.kd
    .uniform_work_group_size: 1
    .uses_dynamic_stack: false
    .vgpr_count:     34
    .vgpr_spill_count: 0
    .wavefront_size: 32
amdhsa.target:   amdgcn-amd-amdhsa--gfx1250
amdhsa.version:
  - 1
  - 2
...

	.end_amdgpu_metadata
